;; amdgpu-corpus repo=ROCm/rocFFT kind=compiled arch=gfx1201 opt=O3
	.text
	.amdgcn_target "amdgcn-amd-amdhsa--gfx1201"
	.amdhsa_code_object_version 6
	.protected	bluestein_single_fwd_len26_dim1_dp_op_CI_CI ; -- Begin function bluestein_single_fwd_len26_dim1_dp_op_CI_CI
	.globl	bluestein_single_fwd_len26_dim1_dp_op_CI_CI
	.p2align	8
	.type	bluestein_single_fwd_len26_dim1_dp_op_CI_CI,@function
bluestein_single_fwd_len26_dim1_dp_op_CI_CI: ; @bluestein_single_fwd_len26_dim1_dp_op_CI_CI
; %bb.0:
	s_load_b128 s[16:19], s[0:1], 0x28
	v_lshrrev_b32_e32 v52, 1, v0
	v_mov_b32_e32 v4, 0
	s_mov_b32 s2, exec_lo
	s_delay_alu instid0(VALU_DEP_2) | instskip(SKIP_1) | instid1(VALU_DEP_1)
	v_lshl_or_b32 v3, ttmp9, 5, v52
	s_wait_kmcnt 0x0
	v_cmpx_gt_u64_e64 s[16:17], v[3:4]
	s_cbranch_execz .LBB0_10
; %bb.1:
	s_clause 0x1
	s_load_b128 s[4:7], s[0:1], 0x18
	s_load_b128 s[8:11], s[0:1], 0x0
	v_mov_b32_e32 v4, v3
	v_and_b32_e32 v6, 1, v0
	s_mov_b32 s28, 0x42a4c3d2
	s_mov_b32 s26, 0x66966769
	;; [unrolled: 1-line block ×3, first 2 shown]
	scratch_store_b64 off, v[4:5], off      ; 8-byte Folded Spill
	v_lshlrev_b32_e32 v142, 4, v6
	s_mov_b32 s22, 0x24c2f84
	s_mov_b32 s16, 0x4bc48dbf
	;; [unrolled: 1-line block ×11, first 2 shown]
	s_wait_kmcnt 0x0
	s_load_b128 s[12:15], s[4:5], 0x0
	s_mov_b32 s31, 0x3fec55a7
	s_mov_b32 s21, 0x3fe22d96
	;; [unrolled: 1-line block ×8, first 2 shown]
	s_load_b64 s[0:1], s[0:1], 0x38
	s_wait_kmcnt 0x0
	v_mad_co_u64_u32 v[1:2], null, s14, v3, 0
	v_mul_lo_u32 v4, s13, v6
	s_lshl_b64 s[2:3], s[12:13], 5
	s_delay_alu instid0(VALU_DEP_2)
	v_mad_co_u64_u32 v[2:3], null, s15, v3, v[2:3]
	v_mul_lo_u32 v3, s12, v6
	s_mov_b32 s14, 0xb2365da1
	s_mov_b32 s12, 0xd0032e0c
	;; [unrolled: 1-line block ×4, first 2 shown]
	s_delay_alu instid0(VALU_DEP_2) | instskip(NEXT) | instid1(VALU_DEP_2)
	v_lshlrev_b64_e32 v[0:1], 4, v[1:2]
	v_lshlrev_b64_e32 v[2:3], 4, v[3:4]
	s_delay_alu instid0(VALU_DEP_2) | instskip(NEXT) | instid1(VALU_DEP_3)
	v_add_co_u32 v0, vcc_lo, s18, v0
	v_add_co_ci_u32_e32 v1, vcc_lo, s19, v1, vcc_lo
	s_mov_b32 s18, 0xebaa3ed8
	s_delay_alu instid0(VALU_DEP_2) | instskip(SKIP_1) | instid1(VALU_DEP_2)
	v_add_co_u32 v4, vcc_lo, v0, v2
	s_wait_alu 0xfffd
	v_add_co_ci_u32_e32 v5, vcc_lo, v1, v3, vcc_lo
	s_mov_b32 s19, 0x3fbedb7d
	global_load_b128 v[0:3], v142, s[8:9]
	global_load_b128 v[12:15], v[4:5], off
	v_add_co_u32 v4, vcc_lo, v4, s2
	s_wait_alu 0xfffd
	v_add_co_ci_u32_e32 v5, vcc_lo, s3, v5, vcc_lo
	global_load_b128 v[30:33], v142, s[8:9] offset:32
	global_load_b128 v[16:19], v[4:5], off
	v_add_co_u32 v24, vcc_lo, v4, s2
	s_wait_alu 0xfffd
	v_add_co_ci_u32_e32 v25, vcc_lo, s3, v5, vcc_lo
	global_load_b128 v[7:10], v142, s[8:9] offset:64
	global_load_b128 v[20:23], v[24:25], off
	v_add_co_u32 v24, vcc_lo, v24, s2
	s_wait_alu 0xfffd
	v_add_co_ci_u32_e32 v25, vcc_lo, s3, v25, vcc_lo
	s_wait_loadcnt 0x5
	scratch_store_b128 off, v[0:3], off offset:8 ; 16-byte Folded Spill
	s_wait_loadcnt 0x4
	v_mul_f64_e32 v[26:27], v[14:15], v[2:3]
	v_mul_f64_e32 v[28:29], v[12:13], v[2:3]
	s_wait_loadcnt 0x3
	scratch_store_b128 off, v[30:33], off offset:44 ; 16-byte Folded Spill
	s_wait_loadcnt 0x1
	scratch_store_b128 off, v[7:10], off offset:28 ; 16-byte Folded Spill
	v_fma_f64 v[53:54], v[12:13], v[0:1], v[26:27]
	v_fma_f64 v[55:56], v[14:15], v[0:1], -v[28:29]
	v_mul_f64_e32 v[12:13], v[18:19], v[32:33]
	v_mul_f64_e32 v[14:15], v[16:17], v[32:33]
	s_delay_alu instid0(VALU_DEP_2) | instskip(NEXT) | instid1(VALU_DEP_2)
	v_fma_f64 v[57:58], v[16:17], v[30:31], v[12:13]
	v_fma_f64 v[59:60], v[18:19], v[30:31], -v[14:15]
	global_load_b128 v[0:3], v142, s[8:9] offset:96
	global_load_b128 v[16:19], v[24:25], off
	s_wait_loadcnt 0x2
	v_mul_f64_e32 v[12:13], v[22:23], v[9:10]
	v_mul_f64_e32 v[14:15], v[20:21], v[9:10]
	v_add_co_u32 v24, vcc_lo, v24, s2
	s_wait_alu 0xfffd
	v_add_co_ci_u32_e32 v25, vcc_lo, s3, v25, vcc_lo
	s_delay_alu instid0(VALU_DEP_4) | instskip(NEXT) | instid1(VALU_DEP_4)
	v_fma_f64 v[61:62], v[20:21], v[7:8], v[12:13]
	v_fma_f64 v[63:64], v[22:23], v[7:8], -v[14:15]
	s_wait_loadcnt 0x1
	scratch_store_b128 off, v[0:3], off offset:60 ; 16-byte Folded Spill
	s_wait_loadcnt 0x0
	v_mul_f64_e32 v[20:21], v[18:19], v[2:3]
	v_mul_f64_e32 v[22:23], v[16:17], v[2:3]
	s_delay_alu instid0(VALU_DEP_2) | instskip(NEXT) | instid1(VALU_DEP_2)
	v_fma_f64 v[65:66], v[16:17], v[0:1], v[20:21]
	v_fma_f64 v[67:68], v[18:19], v[0:1], -v[22:23]
	global_load_b128 v[0:3], v142, s[8:9] offset:128
	global_load_b128 v[20:23], v[24:25], off
	s_wait_loadcnt 0x1
	scratch_store_b128 off, v[0:3], off offset:76 ; 16-byte Folded Spill
	s_wait_loadcnt 0x0
	v_mul_f64_e32 v[28:29], v[20:21], v[2:3]
	v_mul_f64_e32 v[26:27], v[22:23], v[2:3]
	s_delay_alu instid0(VALU_DEP_2) | instskip(SKIP_3) | instid1(VALU_DEP_4)
	v_fma_f64 v[71:72], v[22:23], v[0:1], -v[28:29]
	v_add_co_u32 v28, vcc_lo, v24, s2
	s_wait_alu 0xfffd
	v_add_co_ci_u32_e32 v29, vcc_lo, s3, v25, vcc_lo
	v_fma_f64 v[69:70], v[20:21], v[0:1], v[26:27]
	global_load_b128 v[0:3], v142, s[8:9] offset:160
	global_load_b128 v[24:27], v[28:29], off
	s_wait_loadcnt 0x1
	scratch_store_b128 off, v[0:3], off offset:92 ; 16-byte Folded Spill
	s_wait_loadcnt 0x0
	v_mul_f64_e32 v[32:33], v[24:25], v[2:3]
	v_mul_f64_e32 v[30:31], v[26:27], v[2:3]
	s_delay_alu instid0(VALU_DEP_2) | instskip(SKIP_3) | instid1(VALU_DEP_4)
	v_fma_f64 v[75:76], v[26:27], v[0:1], -v[32:33]
	v_add_co_u32 v32, vcc_lo, v28, s2
	s_wait_alu 0xfffd
	v_add_co_ci_u32_e32 v33, vcc_lo, s3, v29, vcc_lo
	v_fma_f64 v[73:74], v[24:25], v[0:1], v[30:31]
	;; [unrolled: 13-line block ×3, first 2 shown]
	global_load_b128 v[28:31], v142, s[8:9] offset:224
	global_load_b128 v[32:35], v[36:37], off
	s_wait_loadcnt 0x0
	v_mul_f64_e32 v[40:41], v[32:33], v[30:31]
	v_mul_f64_e32 v[38:39], v[34:35], v[30:31]
	s_delay_alu instid0(VALU_DEP_2) | instskip(SKIP_3) | instid1(VALU_DEP_4)
	v_fma_f64 v[83:84], v[34:35], v[28:29], -v[40:41]
	v_add_co_u32 v40, vcc_lo, v36, s2
	s_wait_alu 0xfffd
	v_add_co_ci_u32_e32 v41, vcc_lo, s3, v37, vcc_lo
	v_fma_f64 v[81:82], v[32:33], v[28:29], v[38:39]
	global_load_b128 v[32:35], v142, s[8:9] offset:256
	global_load_b128 v[36:39], v[40:41], off
	s_wait_loadcnt 0x0
	v_mul_f64_e32 v[44:45], v[36:37], v[34:35]
	v_mul_f64_e32 v[42:43], v[38:39], v[34:35]
	s_delay_alu instid0(VALU_DEP_2) | instskip(SKIP_3) | instid1(VALU_DEP_4)
	v_fma_f64 v[87:88], v[38:39], v[32:33], -v[44:45]
	v_add_co_u32 v44, vcc_lo, v40, s2
	s_wait_alu 0xfffd
	v_add_co_ci_u32_e32 v45, vcc_lo, s3, v41, vcc_lo
	v_fma_f64 v[85:86], v[36:37], v[32:33], v[42:43]
	;; [unrolled: 11-line block ×4, first 2 shown]
	global_load_b128 v[44:47], v142, s[8:9] offset:352
	global_load_b128 v[48:51], v[93:94], off
	s_wait_loadcnt 0x0
	v_mul_f64_e32 v[95:96], v[50:51], v[46:47]
	v_mul_f64_e32 v[103:104], v[48:49], v[46:47]
	s_delay_alu instid0(VALU_DEP_2) | instskip(SKIP_3) | instid1(VALU_DEP_4)
	v_fma_f64 v[101:102], v[48:49], v[44:45], v[95:96]
	v_add_co_u32 v48, vcc_lo, v93, s2
	s_wait_alu 0xfffd
	v_add_co_ci_u32_e32 v49, vcc_lo, s3, v94, vcc_lo
	v_fma_f64 v[103:104], v[50:51], v[44:45], -v[103:104]
	global_load_b128 v[93:96], v[48:49], off
	global_load_b128 v[48:51], v142, s[8:9] offset:384
	s_mov_b32 s2, 0x93053d00
	s_mov_b32 s3, 0xbfef11f4
	s_wait_loadcnt 0x0
	v_mul_f64_e32 v[105:106], v[95:96], v[50:51]
	v_mul_f64_e32 v[107:108], v[93:94], v[50:51]
	s_delay_alu instid0(VALU_DEP_2) | instskip(NEXT) | instid1(VALU_DEP_2)
	v_fma_f64 v[105:106], v[93:94], v[48:49], v[105:106]
	v_fma_f64 v[107:108], v[95:96], v[48:49], -v[107:108]
	v_mul_u32_u24_e32 v96, 26, v52
	s_delay_alu instid0(VALU_DEP_1) | instskip(SKIP_2) | instid1(VALU_DEP_3)
	v_or_b32_e32 v0, v96, v6
	v_lshl_or_b32 v140, v96, 4, v142
	v_lshlrev_b32_e32 v141, 4, v96
	v_lshlrev_b32_e32 v255, 4, v0
	v_mul_u32_u24_e32 v0, 13, v6
	ds_store_b128 v255, v[53:56]
	ds_store_b128 v140, v[57:60] offset:32
	ds_store_b128 v140, v[61:64] offset:64
	;; [unrolled: 1-line block ×12, first 2 shown]
	s_load_b128 s[4:7], s[6:7], 0x0
	global_wb scope:SCOPE_SE
	s_wait_storecnt_dscnt 0x0
	s_wait_kmcnt 0x0
	s_barrier_signal -1
	s_barrier_wait -1
	global_inv scope:SCOPE_SE
	ds_load_b128 v[52:55], v255
	ds_load_b128 v[56:59], v140 offset:32
	ds_load_b128 v[60:63], v140 offset:64
	ds_load_b128 v[84:87], v140 offset:160
	ds_load_b128 v[76:79], v140 offset:192
	ds_load_b128 v[80:83], v140 offset:224
	s_wait_dscnt 0x4
	v_add_f64_e32 v[64:65], v[52:53], v[56:57]
	s_wait_dscnt 0x3
	s_delay_alu instid0(VALU_DEP_1) | instskip(SKIP_1) | instid1(VALU_DEP_1)
	v_add_f64_e32 v[68:69], v[64:65], v[60:61]
	v_add_f64_e32 v[64:65], v[54:55], v[58:59]
	;; [unrolled: 1-line block ×3, first 2 shown]
	ds_load_b128 v[64:67], v140 offset:96
	s_wait_dscnt 0x0
	v_add_f64_e32 v[72:73], v[68:69], v[64:65]
	v_add_f64_e32 v[74:75], v[70:71], v[66:67]
	ds_load_b128 v[68:71], v140 offset:128
	s_wait_dscnt 0x0
	v_add_f64_e32 v[72:73], v[72:73], v[68:69]
	v_add_f64_e32 v[74:75], v[74:75], v[70:71]
	s_delay_alu instid0(VALU_DEP_2) | instskip(NEXT) | instid1(VALU_DEP_2)
	v_add_f64_e32 v[72:73], v[72:73], v[84:85]
	v_add_f64_e32 v[74:75], v[74:75], v[86:87]
	s_delay_alu instid0(VALU_DEP_2) | instskip(SKIP_2) | instid1(VALU_DEP_4)
	v_add_f64_e32 v[88:89], v[72:73], v[76:77]
	v_add_f64_e32 v[72:73], v[76:77], v[80:81]
	v_add_f64_e64 v[76:77], v[76:77], -v[80:81]
	v_add_f64_e32 v[90:91], v[74:75], v[78:79]
	v_add_f64_e32 v[74:75], v[78:79], v[82:83]
	v_add_f64_e64 v[78:79], v[78:79], -v[82:83]
	v_add_f64_e32 v[92:93], v[88:89], v[80:81]
	v_mul_f64_e32 v[199:200], s[22:23], v[76:77]
	v_mul_f64_e32 v[235:236], s[24:25], v[76:77]
	v_add_f64_e32 v[94:95], v[90:91], v[82:83]
	ds_load_b128 v[88:91], v140 offset:256
	v_mul_f64_e32 v[197:198], s[22:23], v[78:79]
	v_mul_f64_e32 v[233:234], s[24:25], v[78:79]
	s_wait_dscnt 0x0
	v_add_f64_e32 v[97:98], v[92:93], v[88:89]
	v_add_f64_e32 v[80:81], v[84:85], v[88:89]
	;; [unrolled: 1-line block ×3, first 2 shown]
	v_add_f64_e64 v[84:85], v[84:85], -v[88:89]
	v_add_f64_e64 v[86:87], v[86:87], -v[90:91]
	v_add_f64_e32 v[99:100], v[94:95], v[90:91]
	ds_load_b128 v[92:95], v140 offset:288
	s_wait_dscnt 0x0
	v_add_f64_e32 v[101:102], v[97:98], v[92:93]
	v_add_f64_e32 v[88:89], v[68:69], v[92:93]
	;; [unrolled: 1-line block ×3, first 2 shown]
	v_add_f64_e64 v[68:69], v[68:69], -v[92:93]
	v_add_f64_e64 v[70:71], v[70:71], -v[94:95]
	v_mul_f64_e32 v[173:174], s[36:37], v[86:87]
	v_mul_f64_e32 v[175:176], s[36:37], v[84:85]
	;; [unrolled: 1-line block ×4, first 2 shown]
	v_add_f64_e32 v[103:104], v[99:100], v[94:95]
	ds_load_b128 v[97:100], v140 offset:320
	s_wait_dscnt 0x0
	v_add_f64_e32 v[92:93], v[64:65], v[97:98]
	v_add_f64_e32 v[94:95], v[66:67], v[99:100]
	v_add_f64_e64 v[64:65], v[64:65], -v[97:98]
	v_add_f64_e64 v[66:67], v[66:67], -v[99:100]
	v_add_f64_e32 v[101:102], v[101:102], v[97:98]
	v_mul_f64_e32 v[169:170], s[38:39], v[70:71]
	v_mul_f64_e32 v[171:172], s[38:39], v[68:69]
	;; [unrolled: 1-line block ×4, first 2 shown]
	v_add_f64_e32 v[103:104], v[103:104], v[99:100]
	ds_load_b128 v[97:100], v140 offset:352
	s_wait_dscnt 0x0
	v_add_f64_e64 v[129:130], v[60:61], -v[97:98]
	v_add_f64_e64 v[131:132], v[62:63], -v[99:100]
	v_add_f64_e32 v[133:134], v[60:61], v[97:98]
	v_add_f64_e32 v[137:138], v[62:63], v[99:100]
	ds_load_b128 v[60:63], v140 offset:384
	v_add_f64_e32 v[97:98], v[101:102], v[97:98]
	v_mul_f64_e32 v[165:166], s[16:17], v[66:67]
	v_mul_f64_e32 v[167:168], s[16:17], v[64:65]
	;; [unrolled: 1-line block ×4, first 2 shown]
	s_mov_b32 s41, 0x3fea55e2
	s_mov_b32 s40, s28
	v_mul_f64_e32 v[223:224], s[28:29], v[64:65]
	s_wait_alu 0xfffe
	v_mul_f64_e32 v[217:218], s[40:41], v[78:79]
	v_mul_f64_e32 v[219:220], s[40:41], v[76:77]
	global_wb scope:SCOPE_SE
	s_wait_dscnt 0x0
	s_barrier_signal -1
	v_add_f64_e32 v[99:100], v[103:104], v[99:100]
	s_barrier_wait -1
	global_inv scope:SCOPE_SE
	v_add_f64_e64 v[101:102], v[58:59], -v[62:63]
	v_add_f64_e64 v[103:104], v[56:57], -v[60:61]
	v_add_f64_e32 v[105:106], v[56:57], v[60:61]
	v_add_f64_e32 v[107:108], v[58:59], v[62:63]
	v_mul_f64_e32 v[183:184], s[16:17], v[129:130]
	v_mul_f64_e32 v[181:182], s[16:17], v[131:132]
	;; [unrolled: 1-line block ×4, first 2 shown]
	s_mov_b32 s39, 0x3fcea1e5
	v_add_f64_e32 v[56:57], v[97:98], v[60:61]
	s_mov_b32 s38, s16
	v_mul_f64_e32 v[221:222], s[36:37], v[131:132]
	s_wait_alu 0xfffe
	v_mul_f64_e32 v[213:214], s[38:39], v[86:87]
	v_mul_f64_e32 v[215:216], s[38:39], v[84:85]
	v_mul_f64_e32 v[225:226], s[38:39], v[70:71]
	v_mul_f64_e32 v[227:228], s[38:39], v[68:69]
	v_add_f64_e32 v[58:59], v[99:100], v[62:63]
	v_mul_f64_e32 v[60:61], s[34:35], v[101:102]
	v_mul_f64_e32 v[62:63], s[28:29], v[101:102]
	;; [unrolled: 1-line block ×10, first 2 shown]
	v_fma_f64 v[111:112], v[105:106], s[30:31], -v[60:61]
	v_fma_f64 v[60:61], v[105:106], s[30:31], v[60:61]
	v_fma_f64 v[113:114], v[105:106], s[20:21], -v[62:63]
	v_fma_f64 v[62:63], v[105:106], s[20:21], v[62:63]
	;; [unrolled: 2-line block ×6, first 2 shown]
	v_mul_f64_e32 v[105:106], s[34:35], v[103:104]
	v_mul_f64_e32 v[103:104], s[16:17], v[103:104]
	v_fma_f64 v[147:148], v[107:108], s[20:21], v[123:124]
	v_fma_f64 v[153:154], v[107:108], s[12:13], v[143:144]
	v_fma_f64 v[123:124], v[107:108], s[20:21], -v[123:124]
	v_fma_f64 v[149:150], v[107:108], s[18:19], v[125:126]
	v_fma_f64 v[125:126], v[107:108], s[18:19], -v[125:126]
	v_fma_f64 v[151:152], v[107:108], s[14:15], v[127:128]
	v_fma_f64 v[127:128], v[107:108], s[14:15], -v[127:128]
	v_fma_f64 v[143:144], v[107:108], s[12:13], -v[143:144]
	s_mov_b32 s35, 0x3fddbe06
	s_wait_alu 0xfffe
	v_mul_f64_e32 v[177:178], s[34:35], v[78:79]
	v_mul_f64_e32 v[179:180], s[34:35], v[76:77]
	;; [unrolled: 1-line block ×8, first 2 shown]
	v_add_f64_e32 v[157:158], v[52:53], v[111:112]
	v_add_f64_e32 v[159:160], v[52:53], v[60:61]
	;; [unrolled: 1-line block ×6, first 2 shown]
	v_fma_f64 v[145:146], v[107:108], s[30:31], v[105:106]
	v_fma_f64 v[105:106], v[107:108], s[30:31], -v[105:106]
	v_fma_f64 v[155:156], v[107:108], s[2:3], v[103:104]
	v_fma_f64 v[103:104], v[107:108], s[2:3], -v[103:104]
	v_add_f64_e32 v[163:164], v[54:55], v[123:124]
	v_add_f64_e32 v[107:108], v[54:55], v[149:150]
	;; [unrolled: 1-line block ×10, first 2 shown]
	v_fma_f64 v[99:100], v[92:93], s[14:15], -v[185:186]
	v_fma_f64 v[101:102], v[92:93], s[30:31], -v[205:206]
	v_add_f64_e32 v[145:146], v[54:55], v[145:146]
	v_add_f64_e32 v[161:162], v[54:55], v[105:106]
	;; [unrolled: 1-line block ×6, first 2 shown]
	v_mul_f64_e32 v[153:154], s[24:25], v[131:132]
	v_add_f64_e32 v[121:122], v[54:55], v[155:156]
	v_mul_f64_e32 v[155:156], s[24:25], v[129:130]
	v_add_f64_e32 v[151:152], v[54:55], v[103:104]
	s_delay_alu instid0(VALU_DEP_4) | instskip(NEXT) | instid1(VALU_DEP_3)
	v_fma_f64 v[52:53], v[133:134], s[14:15], -v[153:154]
	v_fma_f64 v[54:55], v[137:138], s[14:15], v[155:156]
	s_delay_alu instid0(VALU_DEP_2) | instskip(SKIP_1) | instid1(VALU_DEP_3)
	v_add_f64_e32 v[52:53], v[52:53], v[60:61]
	v_fma_f64 v[60:61], v[92:93], s[2:3], -v[165:166]
	v_add_f64_e32 v[54:55], v[54:55], v[105:106]
	s_delay_alu instid0(VALU_DEP_2) | instskip(SKIP_1) | instid1(VALU_DEP_1)
	v_add_f64_e32 v[52:53], v[60:61], v[52:53]
	v_fma_f64 v[60:61], v[94:95], s[2:3], v[167:168]
	v_add_f64_e32 v[54:55], v[60:61], v[54:55]
	v_fma_f64 v[60:61], v[88:89], s[12:13], -v[169:170]
	s_delay_alu instid0(VALU_DEP_1) | instskip(SKIP_1) | instid1(VALU_DEP_1)
	v_add_f64_e32 v[52:53], v[60:61], v[52:53]
	v_fma_f64 v[60:61], v[90:91], s[12:13], v[171:172]
	v_add_f64_e32 v[54:55], v[60:61], v[54:55]
	v_fma_f64 v[60:61], v[80:81], s[18:19], -v[173:174]
	s_delay_alu instid0(VALU_DEP_1) | instskip(SKIP_1) | instid1(VALU_DEP_1)
	;; [unrolled: 5-line block ×3, first 2 shown]
	v_add_f64_e32 v[52:53], v[60:61], v[52:53]
	v_fma_f64 v[60:61], v[74:75], s[30:31], v[179:180]
	v_add_f64_e32 v[54:55], v[60:61], v[54:55]
	v_fma_f64 v[60:61], v[133:134], s[2:3], -v[181:182]
	s_delay_alu instid0(VALU_DEP_1) | instskip(SKIP_1) | instid1(VALU_DEP_2)
	v_add_f64_e32 v[60:61], v[60:61], v[62:63]
	v_fma_f64 v[62:63], v[137:138], s[2:3], v[183:184]
	v_add_f64_e32 v[60:61], v[99:100], v[60:61]
	s_delay_alu instid0(VALU_DEP_2) | instskip(SKIP_1) | instid1(VALU_DEP_1)
	v_add_f64_e32 v[62:63], v[62:63], v[107:108]
	v_fma_f64 v[99:100], v[94:95], s[14:15], v[187:188]
	v_add_f64_e32 v[62:63], v[99:100], v[62:63]
	v_fma_f64 v[99:100], v[88:89], s[30:31], -v[189:190]
	s_delay_alu instid0(VALU_DEP_1) | instskip(SKIP_1) | instid1(VALU_DEP_1)
	v_add_f64_e32 v[60:61], v[99:100], v[60:61]
	v_fma_f64 v[99:100], v[90:91], s[30:31], v[191:192]
	v_add_f64_e32 v[62:63], v[99:100], v[62:63]
	v_fma_f64 v[99:100], v[80:81], s[20:21], -v[193:194]
	s_delay_alu instid0(VALU_DEP_1) | instskip(SKIP_1) | instid1(VALU_DEP_1)
	;; [unrolled: 5-line block ×3, first 2 shown]
	v_add_f64_e32 v[60:61], v[99:100], v[60:61]
	v_fma_f64 v[99:100], v[74:75], s[12:13], v[199:200]
	v_add_f64_e32 v[62:63], v[99:100], v[62:63]
	v_fma_f64 v[99:100], v[133:134], s[12:13], -v[201:202]
	s_delay_alu instid0(VALU_DEP_1) | instskip(SKIP_1) | instid1(VALU_DEP_2)
	v_add_f64_e32 v[97:98], v[99:100], v[97:98]
	v_fma_f64 v[99:100], v[137:138], s[12:13], v[203:204]
	v_add_f64_e32 v[97:98], v[101:102], v[97:98]
	s_delay_alu instid0(VALU_DEP_2) | instskip(SKIP_3) | instid1(VALU_DEP_3)
	v_add_f64_e32 v[99:100], v[99:100], v[111:112]
	v_fma_f64 v[101:102], v[94:95], s[30:31], v[207:208]
	v_mul_f64_e32 v[111:112], s[34:35], v[131:132]
	v_mul_f64_e32 v[131:132], s[28:29], v[131:132]
	v_add_f64_e32 v[99:100], v[101:102], v[99:100]
	v_fma_f64 v[101:102], v[88:89], s[18:19], -v[209:210]
	s_delay_alu instid0(VALU_DEP_1) | instskip(SKIP_1) | instid1(VALU_DEP_1)
	v_add_f64_e32 v[97:98], v[101:102], v[97:98]
	v_fma_f64 v[101:102], v[90:91], s[18:19], v[211:212]
	v_add_f64_e32 v[99:100], v[101:102], v[99:100]
	v_fma_f64 v[101:102], v[80:81], s[2:3], -v[213:214]
	s_delay_alu instid0(VALU_DEP_1) | instskip(SKIP_1) | instid1(VALU_DEP_1)
	v_add_f64_e32 v[97:98], v[101:102], v[97:98]
	v_fma_f64 v[101:102], v[82:83], s[2:3], v[215:216]
	;; [unrolled: 5-line block ×3, first 2 shown]
	v_add_f64_e32 v[99:100], v[101:102], v[99:100]
	v_fma_f64 v[101:102], v[133:134], s[18:19], -v[221:222]
	s_delay_alu instid0(VALU_DEP_1) | instskip(SKIP_1) | instid1(VALU_DEP_1)
	v_add_f64_e32 v[101:102], v[101:102], v[113:114]
	v_mul_f64_e32 v[113:114], s[36:37], v[129:130]
	v_fma_f64 v[103:104], v[137:138], s[18:19], v[113:114]
	v_fma_f64 v[113:114], v[137:138], s[18:19], -v[113:114]
	s_delay_alu instid0(VALU_DEP_2) | instskip(SKIP_1) | instid1(VALU_DEP_3)
	v_add_f64_e32 v[103:104], v[103:104], v[115:116]
	v_mul_f64_e32 v[115:116], s[28:29], v[66:67]
	v_add_f64_e32 v[113:114], v[113:114], v[143:144]
	v_fma_f64 v[143:144], v[92:93], s[2:3], v[165:166]
	s_delay_alu instid0(VALU_DEP_3) | instskip(SKIP_1) | instid1(VALU_DEP_2)
	v_fma_f64 v[105:106], v[92:93], s[20:21], -v[115:116]
	v_fma_f64 v[115:116], v[92:93], s[20:21], v[115:116]
	v_add_f64_e32 v[101:102], v[105:106], v[101:102]
	v_fma_f64 v[105:106], v[94:95], s[20:21], v[223:224]
	s_delay_alu instid0(VALU_DEP_1) | instskip(SKIP_1) | instid1(VALU_DEP_1)
	v_add_f64_e32 v[103:104], v[105:106], v[103:104]
	v_fma_f64 v[105:106], v[88:89], s[2:3], -v[225:226]
	v_add_f64_e32 v[101:102], v[105:106], v[101:102]
	v_fma_f64 v[105:106], v[90:91], s[2:3], v[227:228]
	s_delay_alu instid0(VALU_DEP_1) | instskip(SKIP_1) | instid1(VALU_DEP_1)
	v_add_f64_e32 v[103:104], v[105:106], v[103:104]
	v_fma_f64 v[105:106], v[80:81], s[30:31], -v[229:230]
	;; [unrolled: 5-line block ×3, first 2 shown]
	v_add_f64_e32 v[101:102], v[105:106], v[101:102]
	v_fma_f64 v[105:106], v[74:75], s[14:15], v[235:236]
	s_delay_alu instid0(VALU_DEP_1) | instskip(SKIP_2) | instid1(VALU_DEP_2)
	v_add_f64_e32 v[103:104], v[105:106], v[103:104]
	v_fma_f64 v[105:106], v[133:134], s[30:31], -v[111:112]
	v_fma_f64 v[111:112], v[133:134], s[30:31], v[111:112]
	v_add_f64_e32 v[105:106], v[105:106], v[109:110]
	v_mul_f64_e32 v[109:110], s[34:35], v[129:130]
	s_delay_alu instid0(VALU_DEP_3) | instskip(SKIP_1) | instid1(VALU_DEP_3)
	v_add_f64_e32 v[111:112], v[111:112], v[149:150]
	v_mul_f64_e32 v[129:130], s[28:29], v[129:130]
	v_fma_f64 v[107:108], v[137:138], s[30:31], v[109:110]
	v_fma_f64 v[109:110], v[137:138], s[30:31], -v[109:110]
	s_delay_alu instid0(VALU_DEP_2) | instskip(SKIP_1) | instid1(VALU_DEP_3)
	v_add_f64_e32 v[107:108], v[107:108], v[121:122]
	v_mul_f64_e32 v[121:122], s[22:23], v[66:67]
	v_add_f64_e32 v[109:110], v[109:110], v[151:152]
	s_delay_alu instid0(VALU_DEP_2) | instskip(SKIP_1) | instid1(VALU_DEP_2)
	v_fma_f64 v[237:238], v[92:93], s[12:13], -v[121:122]
	v_fma_f64 v[121:122], v[92:93], s[12:13], v[121:122]
	v_add_f64_e32 v[105:106], v[237:238], v[105:106]
	v_mul_f64_e32 v[237:238], s[22:23], v[64:65]
	s_delay_alu instid0(VALU_DEP_3) | instskip(NEXT) | instid1(VALU_DEP_2)
	v_add_f64_e32 v[111:112], v[121:122], v[111:112]
	v_fma_f64 v[239:240], v[94:95], s[12:13], v[237:238]
	v_fma_f64 v[121:122], v[94:95], s[12:13], -v[237:238]
	s_delay_alu instid0(VALU_DEP_2) | instskip(SKIP_1) | instid1(VALU_DEP_3)
	v_add_f64_e32 v[107:108], v[239:240], v[107:108]
	v_mul_f64_e32 v[239:240], s[40:41], v[70:71]
	v_add_f64_e32 v[109:110], v[121:122], v[109:110]
	v_mul_f64_e32 v[70:71], s[24:25], v[70:71]
	s_delay_alu instid0(VALU_DEP_3) | instskip(SKIP_1) | instid1(VALU_DEP_2)
	v_fma_f64 v[241:242], v[88:89], s[20:21], -v[239:240]
	v_fma_f64 v[121:122], v[88:89], s[20:21], v[239:240]
	v_add_f64_e32 v[105:106], v[241:242], v[105:106]
	v_mul_f64_e32 v[241:242], s[40:41], v[68:69]
	s_delay_alu instid0(VALU_DEP_3) | instskip(SKIP_1) | instid1(VALU_DEP_3)
	v_add_f64_e32 v[111:112], v[121:122], v[111:112]
	v_mul_f64_e32 v[68:69], s[24:25], v[68:69]
	v_fma_f64 v[243:244], v[90:91], s[20:21], v[241:242]
	v_fma_f64 v[121:122], v[90:91], s[20:21], -v[241:242]
	s_delay_alu instid0(VALU_DEP_2) | instskip(SKIP_1) | instid1(VALU_DEP_3)
	v_add_f64_e32 v[107:108], v[243:244], v[107:108]
	v_mul_f64_e32 v[243:244], s[24:25], v[86:87]
	v_add_f64_e32 v[109:110], v[121:122], v[109:110]
	v_mul_f64_e32 v[86:87], s[22:23], v[86:87]
	s_delay_alu instid0(VALU_DEP_3) | instskip(SKIP_1) | instid1(VALU_DEP_2)
	v_fma_f64 v[245:246], v[80:81], s[14:15], -v[243:244]
	v_fma_f64 v[121:122], v[80:81], s[14:15], v[243:244]
	v_add_f64_e32 v[105:106], v[245:246], v[105:106]
	v_mul_f64_e32 v[245:246], s[24:25], v[84:85]
	s_delay_alu instid0(VALU_DEP_3) | instskip(SKIP_1) | instid1(VALU_DEP_3)
	v_add_f64_e32 v[111:112], v[121:122], v[111:112]
	v_mul_f64_e32 v[84:85], s[22:23], v[84:85]
	;; [unrolled: 15-line block ×3, first 2 shown]
	v_fma_f64 v[149:150], v[74:75], s[18:19], -v[249:250]
	v_fma_f64 v[251:252], v[74:75], s[18:19], v[249:250]
	s_delay_alu instid0(VALU_DEP_2) | instskip(SKIP_1) | instid1(VALU_DEP_3)
	v_add_f64_e32 v[111:112], v[149:150], v[121:122]
	v_fma_f64 v[121:122], v[133:134], s[18:19], v[221:222]
	v_add_f64_e32 v[107:108], v[251:252], v[107:108]
	s_delay_alu instid0(VALU_DEP_2) | instskip(SKIP_1) | instid1(VALU_DEP_2)
	v_add_f64_e32 v[119:120], v[121:122], v[119:120]
	v_fma_f64 v[121:122], v[74:75], s[14:15], -v[235:236]
	v_add_f64_e32 v[115:116], v[115:116], v[119:120]
	v_fma_f64 v[119:120], v[94:95], s[20:21], -v[223:224]
	s_delay_alu instid0(VALU_DEP_1) | instskip(SKIP_1) | instid1(VALU_DEP_1)
	v_add_f64_e32 v[113:114], v[119:120], v[113:114]
	v_fma_f64 v[119:120], v[88:89], s[2:3], v[225:226]
	v_add_f64_e32 v[115:116], v[119:120], v[115:116]
	v_fma_f64 v[119:120], v[90:91], s[2:3], -v[227:228]
	s_delay_alu instid0(VALU_DEP_1) | instskip(SKIP_1) | instid1(VALU_DEP_1)
	v_add_f64_e32 v[113:114], v[119:120], v[113:114]
	v_fma_f64 v[119:120], v[80:81], s[30:31], v[229:230]
	;; [unrolled: 5-line block ×3, first 2 shown]
	v_add_f64_e32 v[113:114], v[113:114], v[115:116]
	s_delay_alu instid0(VALU_DEP_3) | instskip(SKIP_2) | instid1(VALU_DEP_2)
	v_add_f64_e32 v[115:116], v[121:122], v[119:120]
	v_fma_f64 v[119:120], v[133:134], s[12:13], v[201:202]
	v_fma_f64 v[121:122], v[92:93], s[30:31], v[205:206]
	v_add_f64_e32 v[117:118], v[119:120], v[117:118]
	v_fma_f64 v[119:120], v[137:138], s[12:13], -v[203:204]
	s_delay_alu instid0(VALU_DEP_2) | instskip(NEXT) | instid1(VALU_DEP_2)
	v_add_f64_e32 v[117:118], v[121:122], v[117:118]
	v_add_f64_e32 v[119:120], v[119:120], v[127:128]
	v_fma_f64 v[121:122], v[94:95], s[30:31], -v[207:208]
	v_fma_f64 v[127:128], v[74:75], s[20:21], -v[219:220]
	s_delay_alu instid0(VALU_DEP_2) | instskip(SKIP_1) | instid1(VALU_DEP_1)
	v_add_f64_e32 v[119:120], v[121:122], v[119:120]
	v_fma_f64 v[121:122], v[88:89], s[18:19], v[209:210]
	v_add_f64_e32 v[117:118], v[121:122], v[117:118]
	v_fma_f64 v[121:122], v[90:91], s[18:19], -v[211:212]
	s_delay_alu instid0(VALU_DEP_1) | instskip(SKIP_1) | instid1(VALU_DEP_1)
	v_add_f64_e32 v[119:120], v[121:122], v[119:120]
	v_fma_f64 v[121:122], v[80:81], s[2:3], v[213:214]
	v_add_f64_e32 v[117:118], v[121:122], v[117:118]
	v_fma_f64 v[121:122], v[82:83], s[2:3], -v[215:216]
	s_delay_alu instid0(VALU_DEP_1) | instskip(SKIP_1) | instid1(VALU_DEP_2)
	v_add_f64_e32 v[119:120], v[121:122], v[119:120]
	v_fma_f64 v[121:122], v[72:73], s[20:21], v[217:218]
	v_add_f64_e32 v[119:120], v[127:128], v[119:120]
	s_delay_alu instid0(VALU_DEP_2) | instskip(SKIP_2) | instid1(VALU_DEP_2)
	v_add_f64_e32 v[117:118], v[121:122], v[117:118]
	v_fma_f64 v[121:122], v[133:134], s[2:3], v[181:182]
	v_fma_f64 v[127:128], v[74:75], s[12:13], -v[199:200]
	v_add_f64_e32 v[121:122], v[121:122], v[123:124]
	v_fma_f64 v[123:124], v[137:138], s[2:3], -v[183:184]
	s_delay_alu instid0(VALU_DEP_1) | instskip(SKIP_1) | instid1(VALU_DEP_1)
	v_add_f64_e32 v[123:124], v[123:124], v[125:126]
	v_fma_f64 v[125:126], v[92:93], s[14:15], v[185:186]
	v_add_f64_e32 v[121:122], v[125:126], v[121:122]
	v_fma_f64 v[125:126], v[94:95], s[14:15], -v[187:188]
	s_delay_alu instid0(VALU_DEP_1) | instskip(SKIP_1) | instid1(VALU_DEP_1)
	v_add_f64_e32 v[123:124], v[125:126], v[123:124]
	v_fma_f64 v[125:126], v[88:89], s[30:31], v[189:190]
	;; [unrolled: 5-line block ×3, first 2 shown]
	v_add_f64_e32 v[121:122], v[125:126], v[121:122]
	v_fma_f64 v[125:126], v[82:83], s[20:21], -v[195:196]
	s_delay_alu instid0(VALU_DEP_1) | instskip(SKIP_1) | instid1(VALU_DEP_2)
	v_add_f64_e32 v[123:124], v[125:126], v[123:124]
	v_fma_f64 v[125:126], v[72:73], s[12:13], v[197:198]
	v_add_f64_e32 v[123:124], v[127:128], v[123:124]
	s_delay_alu instid0(VALU_DEP_2) | instskip(SKIP_2) | instid1(VALU_DEP_2)
	v_add_f64_e32 v[121:122], v[125:126], v[121:122]
	v_fma_f64 v[125:126], v[133:134], s[14:15], v[153:154]
	v_fma_f64 v[127:128], v[137:138], s[14:15], -v[155:156]
	v_add_f64_e32 v[125:126], v[125:126], v[147:148]
	s_delay_alu instid0(VALU_DEP_2) | instskip(SKIP_1) | instid1(VALU_DEP_3)
	v_add_f64_e32 v[127:128], v[127:128], v[163:164]
	v_fma_f64 v[147:148], v[74:75], s[30:31], -v[179:180]
	v_add_f64_e32 v[125:126], v[143:144], v[125:126]
	v_fma_f64 v[143:144], v[94:95], s[2:3], -v[167:168]
	s_delay_alu instid0(VALU_DEP_1) | instskip(SKIP_1) | instid1(VALU_DEP_1)
	v_add_f64_e32 v[127:128], v[143:144], v[127:128]
	v_fma_f64 v[143:144], v[88:89], s[12:13], v[169:170]
	v_add_f64_e32 v[125:126], v[143:144], v[125:126]
	v_fma_f64 v[143:144], v[90:91], s[12:13], -v[171:172]
	s_delay_alu instid0(VALU_DEP_1) | instskip(SKIP_1) | instid1(VALU_DEP_1)
	v_add_f64_e32 v[127:128], v[143:144], v[127:128]
	v_fma_f64 v[143:144], v[80:81], s[18:19], v[173:174]
	v_add_f64_e32 v[125:126], v[143:144], v[125:126]
	v_fma_f64 v[143:144], v[82:83], s[18:19], -v[175:176]
	s_delay_alu instid0(VALU_DEP_1) | instskip(SKIP_1) | instid1(VALU_DEP_2)
	v_add_f64_e32 v[127:128], v[143:144], v[127:128]
	v_fma_f64 v[143:144], v[72:73], s[30:31], v[177:178]
	v_add_f64_e32 v[127:128], v[147:148], v[127:128]
	v_fma_f64 v[147:148], v[137:138], s[20:21], v[129:130]
	s_delay_alu instid0(VALU_DEP_3)
	v_add_f64_e32 v[125:126], v[143:144], v[125:126]
	v_fma_f64 v[143:144], v[133:134], s[20:21], -v[131:132]
	v_fma_f64 v[131:132], v[133:134], s[20:21], v[131:132]
	v_fma_f64 v[129:130], v[137:138], s[20:21], -v[129:130]
	v_add_f64_e32 v[145:146], v[147:148], v[145:146]
	v_mul_f64_e32 v[147:148], s[26:27], v[66:67]
	v_add_f64_e32 v[143:144], v[143:144], v[157:158]
	v_add_f64_e32 v[131:132], v[131:132], v[159:160]
	;; [unrolled: 1-line block ×3, first 2 shown]
	s_delay_alu instid0(VALU_DEP_4) | instskip(SKIP_1) | instid1(VALU_DEP_2)
	v_fma_f64 v[66:67], v[92:93], s[18:19], -v[147:148]
	v_fma_f64 v[92:93], v[92:93], s[18:19], v[147:148]
	v_add_f64_e32 v[66:67], v[66:67], v[143:144]
	v_mul_f64_e32 v[143:144], s[26:27], v[64:65]
	s_delay_alu instid0(VALU_DEP_1) | instskip(SKIP_2) | instid1(VALU_DEP_3)
	v_fma_f64 v[64:65], v[94:95], s[18:19], v[143:144]
	v_fma_f64 v[94:95], v[94:95], s[18:19], -v[143:144]
	v_add_lshl_u32 v144, v96, v0, 4
	v_add_f64_e32 v[64:65], v[64:65], v[145:146]
	v_fma_f64 v[145:146], v[88:89], s[14:15], -v[70:71]
	v_fma_f64 v[70:71], v[88:89], s[14:15], v[70:71]
	v_add_f64_e32 v[88:89], v[92:93], v[131:132]
	s_delay_alu instid0(VALU_DEP_3) | instskip(SKIP_4) | instid1(VALU_DEP_4)
	v_add_f64_e32 v[66:67], v[145:146], v[66:67]
	v_fma_f64 v[145:146], v[90:91], s[14:15], v[68:69]
	v_fma_f64 v[68:69], v[90:91], s[14:15], -v[68:69]
	v_add_f64_e32 v[90:91], v[94:95], v[129:130]
	v_add_f64_e32 v[70:71], v[70:71], v[88:89]
	;; [unrolled: 1-line block ×3, first 2 shown]
	v_fma_f64 v[145:146], v[80:81], s[12:13], -v[86:87]
	v_fma_f64 v[80:81], v[80:81], s[12:13], v[86:87]
	v_add_f64_e32 v[68:69], v[68:69], v[90:91]
	s_delay_alu instid0(VALU_DEP_3) | instskip(SKIP_3) | instid1(VALU_DEP_3)
	v_add_f64_e32 v[66:67], v[145:146], v[66:67]
	v_fma_f64 v[145:146], v[82:83], s[12:13], v[84:85]
	v_fma_f64 v[82:83], v[82:83], s[12:13], -v[84:85]
	v_add_f64_e32 v[70:71], v[80:81], v[70:71]
	v_add_f64_e32 v[145:146], v[145:146], v[64:65]
	v_fma_f64 v[64:65], v[72:73], s[2:3], -v[78:79]
	v_fma_f64 v[72:73], v[72:73], s[2:3], v[78:79]
	v_add_f64_e32 v[68:69], v[82:83], v[68:69]
	s_delay_alu instid0(VALU_DEP_3)
	v_add_f64_e32 v[64:65], v[64:65], v[66:67]
	v_fma_f64 v[66:67], v[74:75], s[2:3], v[76:77]
	v_fma_f64 v[74:75], v[74:75], s[2:3], -v[76:77]
	v_add_f64_e32 v[84:85], v[72:73], v[70:71]
	v_add_co_u32 v137, s2, s8, v142
	s_wait_alu 0xf1ff
	v_add_co_ci_u32_e64 v138, null, s9, 0, s2
	v_add_f64_e32 v[66:67], v[66:67], v[145:146]
	v_add_f64_e32 v[86:87], v[74:75], v[68:69]
	ds_store_b128 v144, v[52:55] offset:32
	ds_store_b128 v144, v[60:63] offset:48
	;; [unrolled: 1-line block ×11, first 2 shown]
	ds_store_b128 v144, v[56:59]
	v_mov_b32_e32 v52, 0
	v_mov_b32_e32 v53, 0
	scratch_store_b32 off, v6, off offset:24 ; 4-byte Folded Spill
	v_cmp_eq_u32_e32 vcc_lo, 0, v6
                                        ; implicit-def: $vgpr108_vgpr109
	ds_store_b128 v144, v[84:87] offset:192
	global_wb scope:SCOPE_SE
	s_wait_storecnt_dscnt 0x0
	s_barrier_signal -1
	s_barrier_wait -1
	global_inv scope:SCOPE_SE
	ds_load_b128 v[96:99], v255
	ds_load_b128 v[88:91], v140 offset:32
	ds_load_b128 v[124:127], v140 offset:208
	;; [unrolled: 1-line block ×11, first 2 shown]
	s_and_saveexec_b32 s2, vcc_lo
	s_cbranch_execz .LBB0_3
; %bb.2:
	ds_load_b128 v[84:87], v141 offset:192
	ds_load_b128 v[108:111], v141 offset:400
	v_mov_b32_e32 v52, 12
	v_mov_b32_e32 v53, 0
.LBB0_3:
	s_wait_alu 0xfffe
	s_or_b32 exec_lo, exec_lo, s2
	s_clause 0x5
	global_load_b128 v[56:59], v142, s[10:11]
	global_load_b128 v[60:63], v142, s[10:11] offset:32
	global_load_b128 v[64:67], v142, s[10:11] offset:64
	;; [unrolled: 1-line block ×5, first 2 shown]
	v_lshlrev_b32_e32 v0, 4, v52
	global_load_b128 v[52:55], v0, s[10:11]
	s_wait_loadcnt_dscnt 0x609
	v_mul_f64_e32 v[145:146], v[126:127], v[58:59]
	v_mul_f64_e32 v[147:148], v[124:125], v[58:59]
	s_wait_loadcnt_dscnt 0x508
	v_mul_f64_e32 v[149:150], v[114:115], v[62:63]
	v_mul_f64_e32 v[151:152], v[112:113], v[62:63]
	;; [unrolled: 3-line block ×6, first 2 shown]
	v_fma_f64 v[124:125], v[124:125], v[56:57], -v[145:146]
	v_fma_f64 v[126:127], v[126:127], v[56:57], v[147:148]
	v_fma_f64 v[145:146], v[112:113], v[60:61], -v[149:150]
	v_fma_f64 v[147:148], v[114:115], v[60:61], v[151:152]
	;; [unrolled: 2-line block ×6, first 2 shown]
	s_wait_loadcnt 0x0
	v_mul_f64_e32 v[157:158], v[110:111], v[54:55]
	v_mul_f64_e32 v[159:160], v[108:109], v[54:55]
	v_add_f64_e64 v[112:113], v[96:97], -v[124:125]
	v_add_f64_e64 v[114:115], v[98:99], -v[126:127]
	;; [unrolled: 1-line block ×12, first 2 shown]
	v_fma_f64 v[145:146], v[108:109], v[52:53], -v[157:158]
	v_fma_f64 v[147:148], v[110:111], v[52:53], v[159:160]
	v_fma_f64 v[96:97], v[96:97], 2.0, -v[112:113]
	v_fma_f64 v[98:99], v[98:99], 2.0, -v[114:115]
	;; [unrolled: 1-line block ×12, first 2 shown]
	v_add_f64_e64 v[72:73], v[84:85], -v[145:146]
	v_add_f64_e64 v[74:75], v[86:87], -v[147:148]
	ds_store_b128 v255, v[96:99]
	ds_store_b128 v140, v[88:91] offset:32
	ds_store_b128 v140, v[100:103] offset:64
	ds_store_b128 v140, v[116:119] offset:240
	ds_store_b128 v140, v[120:123] offset:272
	ds_store_b128 v140, v[92:95] offset:96
	ds_store_b128 v140, v[104:107] offset:128
	ds_store_b128 v140, v[124:127] offset:304
	ds_store_b128 v140, v[128:131] offset:336
	ds_store_b128 v140, v[112:115] offset:208
	ds_store_b128 v140, v[108:111] offset:160
	ds_store_b128 v140, v[132:135] offset:368
	s_and_saveexec_b32 s2, vcc_lo
	s_cbranch_execz .LBB0_5
; %bb.4:
	v_fma_f64 v[86:87], v[86:87], 2.0, -v[74:75]
	v_fma_f64 v[84:85], v[84:85], 2.0, -v[72:73]
	ds_store_b128 v141, v[84:87] offset:192
	ds_store_b128 v141, v[72:75] offset:400
.LBB0_5:
	s_wait_alu 0xfffe
	s_or_b32 exec_lo, exec_lo, s2
	global_wb scope:SCOPE_SE
	s_wait_dscnt 0x0
	s_barrier_signal -1
	s_barrier_wait -1
	global_inv scope:SCOPE_SE
	global_load_b128 v[84:87], v[137:138], off offset:416
	s_add_nc_u64 s[2:3], s[8:9], 0x1a0
	s_clause 0x2
	global_load_b128 v[88:91], v142, s[2:3] offset:32
	global_load_b128 v[92:95], v142, s[2:3] offset:64
	;; [unrolled: 1-line block ×3, first 2 shown]
	ds_load_b128 v[100:103], v255
	global_load_b128 v[104:107], v142, s[2:3] offset:128
	v_add_nc_u32_e32 v0, v141, v142
	s_mov_b32 s42, 0x4267c47c
	s_mov_b32 s24, 0x42a4c3d2
	;; [unrolled: 1-line block ×24, first 2 shown]
	s_wait_alu 0xfffe
	s_mov_b32 s36, s24
	s_mov_b32 s34, s40
	;; [unrolled: 1-line block ×10, first 2 shown]
	s_wait_loadcnt_dscnt 0x400
	v_mul_f64_e32 v[108:109], v[102:103], v[86:87]
	v_mul_f64_e32 v[86:87], v[100:101], v[86:87]
	s_delay_alu instid0(VALU_DEP_2) | instskip(NEXT) | instid1(VALU_DEP_2)
	v_fma_f64 v[100:101], v[100:101], v[84:85], -v[108:109]
	v_fma_f64 v[102:103], v[102:103], v[84:85], v[86:87]
	global_load_b128 v[84:87], v142, s[2:3] offset:160
	ds_store_b128 v255, v[100:103]
	ds_load_b128 v[100:103], v140 offset:32
	s_wait_loadcnt_dscnt 0x400
	v_mul_f64_e32 v[108:109], v[102:103], v[90:91]
	v_mul_f64_e32 v[90:91], v[100:101], v[90:91]
	s_delay_alu instid0(VALU_DEP_2) | instskip(NEXT) | instid1(VALU_DEP_2)
	v_fma_f64 v[100:101], v[100:101], v[88:89], -v[108:109]
	v_fma_f64 v[102:103], v[102:103], v[88:89], v[90:91]
	ds_load_b128 v[88:91], v140 offset:64
	s_wait_loadcnt_dscnt 0x300
	v_mul_f64_e32 v[108:109], v[90:91], v[94:95]
	v_mul_f64_e32 v[94:95], v[88:89], v[94:95]
	s_delay_alu instid0(VALU_DEP_2) | instskip(NEXT) | instid1(VALU_DEP_2)
	v_fma_f64 v[88:89], v[88:89], v[92:93], -v[108:109]
	v_fma_f64 v[90:91], v[90:91], v[92:93], v[94:95]
	;; [unrolled: 7-line block ×5, first 2 shown]
	global_load_b128 v[84:87], v142, s[2:3] offset:192
	ds_load_b128 v[108:111], v0 offset:192
	s_wait_loadcnt_dscnt 0x0
	v_mul_f64_e32 v[112:113], v[110:111], v[86:87]
	v_mul_f64_e32 v[86:87], v[108:109], v[86:87]
	s_delay_alu instid0(VALU_DEP_2) | instskip(NEXT) | instid1(VALU_DEP_2)
	v_fma_f64 v[108:109], v[108:109], v[84:85], -v[112:113]
	v_fma_f64 v[110:111], v[110:111], v[84:85], v[86:87]
	global_load_b128 v[84:87], v142, s[2:3] offset:224
	ds_load_b128 v[112:115], v140 offset:224
	s_wait_loadcnt_dscnt 0x0
	v_mul_f64_e32 v[116:117], v[114:115], v[86:87]
	v_mul_f64_e32 v[86:87], v[112:113], v[86:87]
	s_delay_alu instid0(VALU_DEP_2) | instskip(NEXT) | instid1(VALU_DEP_2)
	v_fma_f64 v[112:113], v[112:113], v[84:85], -v[116:117]
	v_fma_f64 v[114:115], v[114:115], v[84:85], v[86:87]
	;; [unrolled: 8-line block ×6, first 2 shown]
	global_load_b128 v[84:87], v142, s[2:3] offset:384
	ds_load_b128 v[132:135], v140 offset:384
	s_mov_b32 s2, 0x93053d00
	s_mov_b32 s3, 0xbfef11f4
	ds_store_b128 v140, v[100:103] offset:32
	ds_store_b128 v140, v[88:91] offset:64
	;; [unrolled: 1-line block ×11, first 2 shown]
	scratch_store_b32 off, v0, off offset:124 ; 4-byte Folded Spill
	s_wait_loadcnt_dscnt 0xb
	v_mul_f64_e32 v[145:146], v[134:135], v[86:87]
	v_mul_f64_e32 v[86:87], v[132:133], v[86:87]
	s_delay_alu instid0(VALU_DEP_2) | instskip(NEXT) | instid1(VALU_DEP_2)
	v_fma_f64 v[132:133], v[132:133], v[84:85], -v[145:146]
	v_fma_f64 v[134:135], v[134:135], v[84:85], v[86:87]
	ds_store_b128 v140, v[132:135] offset:384
	global_wb scope:SCOPE_SE
	s_wait_storecnt_dscnt 0x0
	s_barrier_signal -1
	s_barrier_wait -1
	global_inv scope:SCOPE_SE
	ds_load_b128 v[84:87], v255
	ds_load_b128 v[88:91], v140 offset:32
	ds_load_b128 v[92:95], v140 offset:64
	;; [unrolled: 1-line block ×5, first 2 shown]
	s_wait_dscnt 0x4
	v_add_f64_e32 v[96:97], v[84:85], v[88:89]
	v_add_f64_e32 v[98:99], v[86:87], v[90:91]
	s_wait_dscnt 0x3
	s_delay_alu instid0(VALU_DEP_2) | instskip(NEXT) | instid1(VALU_DEP_2)
	v_add_f64_e32 v[100:101], v[96:97], v[92:93]
	v_add_f64_e32 v[102:103], v[98:99], v[94:95]
	ds_load_b128 v[96:99], v140 offset:96
	s_wait_dscnt 0x0
	v_add_f64_e32 v[100:101], v[100:101], v[96:97]
	v_add_f64_e32 v[102:103], v[102:103], v[98:99]
	s_delay_alu instid0(VALU_DEP_2) | instskip(NEXT) | instid1(VALU_DEP_2)
	v_add_f64_e32 v[100:101], v[100:101], v[118:119]
	v_add_f64_e32 v[102:103], v[102:103], v[120:121]
	s_delay_alu instid0(VALU_DEP_2) | instskip(NEXT) | instid1(VALU_DEP_2)
	v_add_f64_e32 v[100:101], v[100:101], v[114:115]
	v_add_f64_e32 v[106:107], v[102:103], v[116:117]
	ds_load_b128 v[102:105], v0 offset:192
	s_wait_dscnt 0x0
	v_add_f64_e32 v[108:109], v[104:105], v[124:125]
	v_add_f64_e64 v[110:111], v[104:105], -v[124:125]
	v_add_f64_e32 v[112:113], v[100:101], v[102:103]
	v_add_f64_e32 v[106:107], v[106:107], v[104:105]
	;; [unrolled: 1-line block ×3, first 2 shown]
	v_add_f64_e64 v[102:103], v[102:103], -v[122:123]
	s_wait_alu 0xfffe
	v_mul_f64_e32 v[217:218], s[2:3], v[108:109]
	v_mul_f64_e32 v[215:216], s[18:19], v[110:111]
	;; [unrolled: 1-line block ×8, first 2 shown]
	v_add_f64_e32 v[126:127], v[112:113], v[122:123]
	v_add_f64_e32 v[128:129], v[106:107], v[124:125]
	ds_load_b128 v[122:125], v140 offset:256
	s_wait_dscnt 0x0
	v_add_f64_e32 v[104:105], v[114:115], v[122:123]
	v_add_f64_e32 v[112:113], v[116:117], v[124:125]
	v_add_f64_e64 v[106:107], v[114:115], -v[122:123]
	v_add_f64_e64 v[114:115], v[116:117], -v[124:125]
	v_fma_f64 v[10:11], v[100:101], s[14:15], v[8:9]
	v_fma_f64 v[26:27], v[100:101], s[10:11], v[24:25]
	v_add_f64_e32 v[126:127], v[126:127], v[122:123]
	v_add_f64_e32 v[128:129], v[128:129], v[124:125]
	ds_load_b128 v[122:125], v140 offset:288
	s_wait_dscnt 0x0
	v_add_f64_e32 v[130:131], v[120:121], v[124:125]
	v_add_f64_e64 v[132:133], v[120:121], -v[124:125]
	v_add_f64_e32 v[116:117], v[118:119], v[122:123]
	v_add_f64_e64 v[118:119], v[118:119], -v[122:123]
	v_mul_f64_e32 v[211:212], s[26:27], v[114:115]
	v_mul_f64_e32 v[213:214], s[8:9], v[112:113]
	;; [unrolled: 1-line block ×10, first 2 shown]
	v_add_f64_e32 v[126:127], v[126:127], v[122:123]
	v_add_f64_e32 v[124:125], v[128:129], v[124:125]
	ds_load_b128 v[120:123], v140 offset:320
	s_wait_dscnt 0x0
	v_add_f64_e32 v[153:154], v[96:97], v[120:121]
	v_add_f64_e32 v[128:129], v[98:99], v[122:123]
	v_add_f64_e64 v[155:156], v[96:97], -v[120:121]
	v_add_f64_e64 v[134:135], v[98:99], -v[122:123]
	ds_load_b128 v[96:99], v140 offset:352
	v_mul_f64_e32 v[207:208], s[20:21], v[132:133]
	v_mul_f64_e32 v[209:210], s[10:11], v[130:131]
	v_mul_f64_e32 v[225:226], s[28:29], v[132:133]
	v_mul_f64_e32 v[227:228], s[8:9], v[130:131]
	v_mul_f64_e32 v[241:242], s[38:39], v[132:133]
	v_mul_f64_e32 v[243:244], s[16:17], v[130:131]
	v_mul_f64_e32 v[138:139], s[40:41], v[132:133]
	v_mul_f64_e32 v[136:137], s[12:13], v[130:131]
	v_fma_f64 v[2:3], v[104:105], s[2:3], v[0:1]
	v_fma_f64 v[6:7], v[106:107], s[18:19], v[4:5]
	v_mul_f64_e32 v[16:17], s[22:23], v[132:133]
	v_add_f64_e32 v[120:121], v[126:127], v[120:121]
	v_add_f64_e32 v[122:123], v[124:125], v[122:123]
	v_fma_f64 v[22:23], v[104:105], s[16:17], v[20:21]
	v_mul_f64_e32 v[132:133], s[36:37], v[132:133]
	v_fma_f64 v[0:1], v[104:105], s[2:3], -v[0:1]
	v_fma_f64 v[4:5], v[106:107], s[22:23], v[4:5]
	s_wait_dscnt 0x0
	v_add_f64_e64 v[145:146], v[94:95], -v[98:99]
	v_add_f64_e32 v[147:148], v[94:95], v[98:99]
	v_add_f64_e32 v[157:158], v[92:93], v[96:97]
	v_add_f64_e64 v[159:160], v[92:93], -v[96:97]
	ds_load_b128 v[92:95], v140 offset:384
	v_mul_f64_e32 v[205:206], s[12:13], v[128:129]
	v_mul_f64_e32 v[223:224], s[2:3], v[128:129]
	v_mul_f64_e32 v[203:204], s[40:41], v[134:135]
	v_mul_f64_e32 v[239:240], s[10:11], v[128:129]
	v_mul_f64_e32 v[142:143], s[16:17], v[128:129]
	v_mul_f64_e32 v[12:13], s[14:15], v[128:129]
	v_mul_f64_e32 v[128:129], s[8:9], v[128:129]
	s_wait_dscnt 0x0
	v_add_f64_e32 v[124:125], v[88:89], v[92:93]
	v_add_f64_e64 v[126:127], v[88:89], -v[92:93]
	v_fma_f64 v[18:19], v[116:117], s[2:3], v[16:17]
	v_add_f64_e32 v[96:97], v[120:121], v[96:97]
	v_add_f64_e32 v[98:99], v[122:123], v[98:99]
	v_add_f64_e64 v[120:121], v[90:91], -v[94:95]
	v_add_f64_e32 v[122:123], v[90:91], v[94:95]
	v_mul_f64_e32 v[199:200], s[24:25], v[145:146]
	v_mul_f64_e32 v[201:202], s[14:15], v[147:148]
	;; [unrolled: 1-line block ×6, first 2 shown]
	v_fma_f64 v[14:15], v[155:156], s[36:37], v[12:13]
	v_fma_f64 v[12:13], v[155:156], s[24:25], v[12:13]
	v_add_f64_e32 v[88:89], v[96:97], v[92:93]
	v_add_f64_e32 v[90:91], v[98:99], v[94:95]
	v_mul_f64_e32 v[92:93], s[42:43], v[120:121]
	v_mul_f64_e32 v[94:95], s[24:25], v[120:121]
	;; [unrolled: 1-line block ×10, first 2 shown]
	v_fma_f64 v[151:152], v[124:125], s[16:17], v[92:93]
	v_fma_f64 v[92:93], v[124:125], s[16:17], -v[92:93]
	v_fma_f64 v[161:162], v[124:125], s[14:15], v[94:95]
	v_fma_f64 v[94:95], v[124:125], s[14:15], -v[94:95]
	;; [unrolled: 2-line block ×6, first 2 shown]
	v_mul_f64_e32 v[124:125], s[16:17], v[122:123]
	v_mul_f64_e32 v[122:123], s[2:3], v[122:123]
	v_fma_f64 v[181:182], v[126:127], s[36:37], v[171:172]
	v_fma_f64 v[183:184], v[126:127], s[34:35], v[173:174]
	;; [unrolled: 1-line block ×8, first 2 shown]
	v_add_f64_e32 v[191:192], v[84:85], v[151:152]
	v_add_f64_e32 v[92:93], v[84:85], v[92:93]
	;; [unrolled: 1-line block ×9, first 2 shown]
	v_fma_f64 v[179:180], v[126:127], s[38:39], v[124:125]
	v_fma_f64 v[124:125], v[126:127], s[42:43], v[124:125]
	v_fma_f64 v[189:190], v[126:127], s[22:23], v[122:123]
	v_fma_f64 v[122:123], v[126:127], s[18:19], v[122:123]
	v_add_f64_e32 v[126:127], v[84:85], v[161:162]
	v_add_f64_e32 v[151:152], v[86:87], v[181:182]
	;; [unrolled: 1-line block ×5, first 2 shown]
	v_fma_f64 v[84:85], v[157:158], s[14:15], -v[199:200]
	v_add_f64_e32 v[171:172], v[86:87], v[171:172]
	v_add_f64_e32 v[173:174], v[86:87], v[173:174]
	;; [unrolled: 1-line block ×6, first 2 shown]
	v_fma_f64 v[94:95], v[159:160], s[30:31], v[221:222]
	v_add_f64_e32 v[179:180], v[86:87], v[179:180]
	v_add_f64_e32 v[124:125], v[86:87], v[124:125]
	;; [unrolled: 1-line block ×4, first 2 shown]
	v_fma_f64 v[86:87], v[159:160], s[24:25], v[201:202]
	v_add_f64_e32 v[84:85], v[84:85], v[92:93]
	v_fma_f64 v[92:93], v[153:154], s[12:13], -v[203:204]
	v_add_f64_e32 v[94:95], v[94:95], v[151:152]
	v_mul_f64_e32 v[151:152], s[18:19], v[134:135]
	v_add_f64_e32 v[86:87], v[86:87], v[124:125]
	s_delay_alu instid0(VALU_DEP_4) | instskip(SKIP_1) | instid1(VALU_DEP_4)
	v_add_f64_e32 v[84:85], v[92:93], v[84:85]
	v_fma_f64 v[92:93], v[155:156], s[40:41], v[205:206]
	v_fma_f64 v[96:97], v[153:154], s[2:3], v[151:152]
	s_delay_alu instid0(VALU_DEP_2) | instskip(SKIP_1) | instid1(VALU_DEP_1)
	v_add_f64_e32 v[86:87], v[92:93], v[86:87]
	v_fma_f64 v[92:93], v[116:117], s[10:11], -v[207:208]
	v_add_f64_e32 v[84:85], v[92:93], v[84:85]
	v_fma_f64 v[92:93], v[118:119], s[20:21], v[209:210]
	s_delay_alu instid0(VALU_DEP_1) | instskip(SKIP_1) | instid1(VALU_DEP_1)
	v_add_f64_e32 v[86:87], v[92:93], v[86:87]
	v_fma_f64 v[92:93], v[104:105], s[8:9], -v[211:212]
	v_add_f64_e32 v[84:85], v[92:93], v[84:85]
	v_fma_f64 v[92:93], v[106:107], s[26:27], v[213:214]
	s_delay_alu instid0(VALU_DEP_1) | instskip(SKIP_1) | instid1(VALU_DEP_1)
	v_add_f64_e32 v[86:87], v[92:93], v[86:87]
	v_fma_f64 v[92:93], v[100:101], s[2:3], -v[215:216]
	v_add_f64_e32 v[84:85], v[92:93], v[84:85]
	v_fma_f64 v[92:93], v[102:103], s[18:19], v[217:218]
	s_delay_alu instid0(VALU_DEP_1) | instskip(SKIP_1) | instid1(VALU_DEP_1)
	v_add_f64_e32 v[86:87], v[92:93], v[86:87]
	v_fma_f64 v[92:93], v[157:158], s[10:11], v[219:220]
	v_add_f64_e32 v[92:93], v[92:93], v[126:127]
	s_delay_alu instid0(VALU_DEP_1) | instskip(SKIP_1) | instid1(VALU_DEP_1)
	v_add_f64_e32 v[92:93], v[96:97], v[92:93]
	v_fma_f64 v[96:97], v[155:156], s[22:23], v[223:224]
	v_add_f64_e32 v[94:95], v[96:97], v[94:95]
	v_fma_f64 v[96:97], v[116:117], s[8:9], v[225:226]
	s_delay_alu instid0(VALU_DEP_1) | instskip(SKIP_1) | instid1(VALU_DEP_1)
	v_add_f64_e32 v[92:93], v[96:97], v[92:93]
	v_fma_f64 v[96:97], v[118:119], s[26:27], v[227:228]
	v_add_f64_e32 v[94:95], v[96:97], v[94:95]
	v_fma_f64 v[96:97], v[104:105], s[12:13], v[229:230]
	;; [unrolled: 5-line block ×4, first 2 shown]
	s_delay_alu instid0(VALU_DEP_1) | instskip(SKIP_1) | instid1(VALU_DEP_1)
	v_add_f64_e32 v[96:97], v[96:97], v[163:164]
	v_mul_f64_e32 v[163:164], s[2:3], v[147:148]
	v_fma_f64 v[98:99], v[159:160], s[22:23], v[163:164]
	s_delay_alu instid0(VALU_DEP_1) | instskip(SKIP_1) | instid1(VALU_DEP_1)
	v_add_f64_e32 v[98:99], v[98:99], v[181:182]
	v_mul_f64_e32 v[181:182], s[30:31], v[134:135]
	v_fma_f64 v[120:121], v[153:154], s[10:11], v[181:182]
	s_delay_alu instid0(VALU_DEP_1) | instskip(SKIP_1) | instid1(VALU_DEP_1)
	v_add_f64_e32 v[96:97], v[120:121], v[96:97]
	v_fma_f64 v[120:121], v[155:156], s[20:21], v[239:240]
	v_add_f64_e32 v[98:99], v[120:121], v[98:99]
	v_fma_f64 v[120:121], v[116:117], s[16:17], v[241:242]
	s_delay_alu instid0(VALU_DEP_1) | instskip(SKIP_1) | instid1(VALU_DEP_1)
	v_add_f64_e32 v[96:97], v[120:121], v[96:97]
	v_fma_f64 v[120:121], v[118:119], s[42:43], v[243:244]
	v_add_f64_e32 v[98:99], v[120:121], v[98:99]
	;; [unrolled: 5-line block ×4, first 2 shown]
	v_fma_f64 v[120:121], v[157:158], s[8:9], v[253:254]
	s_delay_alu instid0(VALU_DEP_1) | instskip(SKIP_1) | instid1(VALU_DEP_1)
	v_add_f64_e32 v[120:121], v[120:121], v[165:166]
	v_mul_f64_e32 v[165:166], s[8:9], v[147:148]
	v_fma_f64 v[122:123], v[159:160], s[26:27], v[165:166]
	s_delay_alu instid0(VALU_DEP_1) | instskip(SKIP_1) | instid1(VALU_DEP_1)
	v_add_f64_e32 v[122:123], v[122:123], v[185:186]
	v_mul_f64_e32 v[185:186], s[38:39], v[134:135]
	v_fma_f64 v[124:125], v[153:154], s[16:17], v[185:186]
	s_delay_alu instid0(VALU_DEP_1) | instskip(SKIP_1) | instid1(VALU_DEP_1)
	v_add_f64_e32 v[120:121], v[124:125], v[120:121]
	v_fma_f64 v[124:125], v[155:156], s[42:43], v[142:143]
	v_add_f64_e32 v[122:123], v[124:125], v[122:123]
	v_fma_f64 v[124:125], v[116:117], s[12:13], v[138:139]
	s_delay_alu instid0(VALU_DEP_1) | instskip(SKIP_1) | instid1(VALU_DEP_2)
	v_add_f64_e32 v[120:121], v[124:125], v[120:121]
	v_fma_f64 v[124:125], v[118:119], s[34:35], v[136:137]
	v_add_f64_e32 v[2:3], v[2:3], v[120:121]
	s_delay_alu instid0(VALU_DEP_2) | instskip(NEXT) | instid1(VALU_DEP_2)
	v_add_f64_e32 v[122:123], v[124:125], v[122:123]
	v_add_f64_e32 v[120:121], v[10:11], v[2:3]
	v_mul_f64_e32 v[2:3], s[14:15], v[108:109]
	s_delay_alu instid0(VALU_DEP_3) | instskip(NEXT) | instid1(VALU_DEP_2)
	v_add_f64_e32 v[6:7], v[6:7], v[122:123]
	v_fma_f64 v[10:11], v[102:103], s[24:25], v[2:3]
	v_fma_f64 v[2:3], v[102:103], s[36:37], v[2:3]
	s_delay_alu instid0(VALU_DEP_2) | instskip(SKIP_1) | instid1(VALU_DEP_1)
	v_add_f64_e32 v[122:123], v[10:11], v[6:7]
	v_mul_f64_e32 v[6:7], s[34:35], v[145:146]
	v_fma_f64 v[10:11], v[157:158], s[12:13], v[6:7]
	v_fma_f64 v[6:7], v[157:158], s[12:13], -v[6:7]
	s_delay_alu instid0(VALU_DEP_2) | instskip(SKIP_1) | instid1(VALU_DEP_3)
	v_add_f64_e32 v[10:11], v[10:11], v[167:168]
	v_mul_f64_e32 v[167:168], s[12:13], v[147:148]
	v_add_f64_e32 v[6:7], v[6:7], v[149:150]
	s_delay_alu instid0(VALU_DEP_2) | instskip(NEXT) | instid1(VALU_DEP_1)
	v_fma_f64 v[124:125], v[159:160], s[40:41], v[167:168]
	v_add_f64_e32 v[124:125], v[124:125], v[187:188]
	v_mul_f64_e32 v[187:188], s[24:25], v[134:135]
	v_mul_f64_e32 v[134:135], s[26:27], v[134:135]
	s_delay_alu instid0(VALU_DEP_3) | instskip(NEXT) | instid1(VALU_DEP_3)
	v_add_f64_e32 v[14:15], v[14:15], v[124:125]
	v_fma_f64 v[126:127], v[153:154], s[14:15], v[187:188]
	s_delay_alu instid0(VALU_DEP_1) | instskip(NEXT) | instid1(VALU_DEP_1)
	v_add_f64_e32 v[10:11], v[126:127], v[10:11]
	v_add_f64_e32 v[10:11], v[18:19], v[10:11]
	v_mul_f64_e32 v[18:19], s[2:3], v[130:131]
	v_mul_f64_e32 v[130:131], s[14:15], v[130:131]
	s_delay_alu instid0(VALU_DEP_3) | instskip(NEXT) | instid1(VALU_DEP_3)
	v_add_f64_e32 v[10:11], v[22:23], v[10:11]
	v_fma_f64 v[124:125], v[118:119], s[18:19], v[18:19]
	v_mul_f64_e32 v[22:23], s[16:17], v[112:113]
	v_mul_f64_e32 v[112:113], s[10:11], v[112:113]
	s_delay_alu instid0(VALU_DEP_3) | instskip(NEXT) | instid1(VALU_DEP_3)
	v_add_f64_e32 v[14:15], v[124:125], v[14:15]
	v_fma_f64 v[124:125], v[106:107], s[42:43], v[22:23]
	s_delay_alu instid0(VALU_DEP_1) | instskip(SKIP_2) | instid1(VALU_DEP_1)
	v_add_f64_e32 v[14:15], v[124:125], v[14:15]
	v_add_f64_e32 v[124:125], v[26:27], v[10:11]
	v_mul_f64_e32 v[10:11], s[10:11], v[108:109]
	v_fma_f64 v[26:27], v[102:103], s[30:31], v[10:11]
	v_fma_f64 v[10:11], v[102:103], s[20:21], v[10:11]
	s_delay_alu instid0(VALU_DEP_2) | instskip(SKIP_2) | instid1(VALU_DEP_2)
	v_add_f64_e32 v[126:127], v[26:27], v[14:15]
	v_mul_f64_e32 v[14:15], s[38:39], v[145:146]
	v_mul_f64_e32 v[145:146], s[16:17], v[147:148]
	v_fma_f64 v[26:27], v[157:158], s[16:17], v[14:15]
	s_delay_alu instid0(VALU_DEP_2) | instskip(SKIP_1) | instid1(VALU_DEP_3)
	v_fma_f64 v[147:148], v[159:160], s[42:43], v[145:146]
	v_fma_f64 v[14:15], v[157:158], s[16:17], -v[14:15]
	v_add_f64_e32 v[26:27], v[26:27], v[169:170]
	v_fma_f64 v[169:170], v[153:154], s[8:9], v[134:135]
	s_delay_alu instid0(VALU_DEP_4)
	v_add_f64_e32 v[147:148], v[147:148], v[189:190]
	v_mul_f64_e32 v[189:190], s[12:13], v[108:109]
	v_add_f64_e32 v[14:15], v[14:15], v[195:196]
	v_fma_f64 v[134:135], v[153:154], s[8:9], -v[134:135]
	v_add_f64_e32 v[26:27], v[169:170], v[26:27]
	v_fma_f64 v[169:170], v[155:156], s[28:29], v[128:129]
	v_fma_f64 v[128:129], v[155:156], s[26:27], v[128:129]
	s_delay_alu instid0(VALU_DEP_4) | instskip(NEXT) | instid1(VALU_DEP_3)
	v_add_f64_e32 v[14:15], v[134:135], v[14:15]
	v_add_f64_e32 v[147:148], v[169:170], v[147:148]
	v_fma_f64 v[169:170], v[116:117], s[14:15], v[132:133]
	s_delay_alu instid0(VALU_DEP_1) | instskip(SKIP_1) | instid1(VALU_DEP_1)
	v_add_f64_e32 v[26:27], v[169:170], v[26:27]
	v_fma_f64 v[169:170], v[118:119], s[24:25], v[130:131]
	v_add_f64_e32 v[147:148], v[169:170], v[147:148]
	v_fma_f64 v[169:170], v[104:105], s[10:11], v[114:115]
	v_fma_f64 v[114:115], v[104:105], s[10:11], -v[114:115]
	s_delay_alu instid0(VALU_DEP_2) | instskip(SKIP_2) | instid1(VALU_DEP_2)
	v_add_f64_e32 v[26:27], v[169:170], v[26:27]
	v_fma_f64 v[169:170], v[106:107], s[30:31], v[112:113]
	v_fma_f64 v[112:113], v[106:107], s[20:21], v[112:113]
	v_add_f64_e32 v[147:148], v[169:170], v[147:148]
	v_mul_f64_e32 v[169:170], s[34:35], v[110:111]
	s_delay_alu instid0(VALU_DEP_1) | instskip(NEXT) | instid1(VALU_DEP_1)
	v_fma_f64 v[108:109], v[100:101], s[12:13], v[169:170]
	v_add_f64_e32 v[108:109], v[108:109], v[26:27]
	v_fma_f64 v[26:27], v[102:103], s[40:41], v[189:190]
	s_delay_alu instid0(VALU_DEP_1) | instskip(SKIP_1) | instid1(VALU_DEP_1)
	v_add_f64_e32 v[110:111], v[26:27], v[147:148]
	v_fma_f64 v[26:27], v[159:160], s[38:39], v[145:146]
	v_add_f64_e32 v[26:27], v[26:27], v[197:198]
	s_delay_alu instid0(VALU_DEP_1) | instskip(SKIP_1) | instid1(VALU_DEP_1)
	v_add_f64_e32 v[26:27], v[128:129], v[26:27]
	v_fma_f64 v[128:129], v[116:117], s[14:15], -v[132:133]
	v_add_f64_e32 v[14:15], v[128:129], v[14:15]
	v_fma_f64 v[128:129], v[118:119], s[36:37], v[130:131]
	s_delay_alu instid0(VALU_DEP_2) | instskip(NEXT) | instid1(VALU_DEP_2)
	v_add_f64_e32 v[14:15], v[114:115], v[14:15]
	v_add_f64_e32 v[26:27], v[128:129], v[26:27]
	v_fma_f64 v[114:115], v[102:103], s[34:35], v[189:190]
	s_delay_alu instid0(VALU_DEP_2) | instskip(SKIP_1) | instid1(VALU_DEP_2)
	v_add_f64_e32 v[26:27], v[112:113], v[26:27]
	v_fma_f64 v[112:113], v[100:101], s[12:13], -v[169:170]
	v_add_f64_e32 v[114:115], v[114:115], v[26:27]
	s_delay_alu instid0(VALU_DEP_2) | instskip(SKIP_2) | instid1(VALU_DEP_2)
	v_add_f64_e32 v[112:113], v[112:113], v[14:15]
	v_fma_f64 v[14:15], v[159:160], s[34:35], v[167:168]
	v_fma_f64 v[26:27], v[153:154], s[14:15], -v[187:188]
	v_add_f64_e32 v[14:15], v[14:15], v[177:178]
	s_delay_alu instid0(VALU_DEP_2)
	v_add_f64_e32 v[6:7], v[26:27], v[6:7]
	scratch_load_b32 v26, off, off offset:124 ; 4-byte Folded Reload
	global_wb scope:SCOPE_SE
	s_wait_loadcnt 0x0
	s_barrier_signal -1
	s_barrier_wait -1
	global_inv scope:SCOPE_SE
	v_add_f64_e32 v[12:13], v[12:13], v[14:15]
	v_fma_f64 v[14:15], v[116:117], s[2:3], -v[16:17]
	s_delay_alu instid0(VALU_DEP_1) | instskip(SKIP_1) | instid1(VALU_DEP_1)
	v_add_f64_e32 v[6:7], v[14:15], v[6:7]
	v_fma_f64 v[14:15], v[118:119], s[22:23], v[18:19]
	v_add_f64_e32 v[12:13], v[14:15], v[12:13]
	v_fma_f64 v[14:15], v[104:105], s[16:17], -v[20:21]
	s_delay_alu instid0(VALU_DEP_1) | instskip(SKIP_1) | instid1(VALU_DEP_1)
	v_add_f64_e32 v[6:7], v[14:15], v[6:7]
	v_fma_f64 v[14:15], v[106:107], s[38:39], v[22:23]
	v_add_f64_e32 v[12:13], v[14:15], v[12:13]
	v_fma_f64 v[14:15], v[100:101], s[10:11], -v[24:25]
	s_delay_alu instid0(VALU_DEP_2) | instskip(NEXT) | instid1(VALU_DEP_2)
	v_add_f64_e32 v[130:131], v[10:11], v[12:13]
	v_add_f64_e32 v[128:129], v[14:15], v[6:7]
	v_fma_f64 v[6:7], v[157:158], s[8:9], -v[253:254]
	v_fma_f64 v[10:11], v[159:160], s[28:29], v[165:166]
	v_fma_f64 v[12:13], v[153:154], s[16:17], -v[185:186]
	s_delay_alu instid0(VALU_DEP_3) | instskip(NEXT) | instid1(VALU_DEP_3)
	v_add_f64_e32 v[6:7], v[6:7], v[193:194]
	v_add_f64_e32 v[10:11], v[10:11], v[175:176]
	s_delay_alu instid0(VALU_DEP_2) | instskip(SKIP_1) | instid1(VALU_DEP_1)
	v_add_f64_e32 v[6:7], v[12:13], v[6:7]
	v_fma_f64 v[12:13], v[155:156], s[38:39], v[142:143]
	v_add_f64_e32 v[10:11], v[12:13], v[10:11]
	v_fma_f64 v[12:13], v[116:117], s[12:13], -v[138:139]
	s_delay_alu instid0(VALU_DEP_1) | instskip(SKIP_1) | instid1(VALU_DEP_2)
	v_add_f64_e32 v[6:7], v[12:13], v[6:7]
	v_fma_f64 v[12:13], v[118:119], s[40:41], v[136:137]
	v_add_f64_e32 v[0:1], v[0:1], v[6:7]
	s_delay_alu instid0(VALU_DEP_2) | instskip(SKIP_2) | instid1(VALU_DEP_3)
	v_add_f64_e32 v[10:11], v[12:13], v[10:11]
	v_fma_f64 v[6:7], v[100:101], s[14:15], -v[8:9]
	v_fma_f64 v[8:9], v[116:117], s[10:11], v[207:208]
	v_add_f64_e32 v[4:5], v[4:5], v[10:11]
	s_delay_alu instid0(VALU_DEP_3)
	v_add_f64_e32 v[132:133], v[6:7], v[0:1]
	v_fma_f64 v[0:1], v[157:158], s[2:3], -v[237:238]
	v_fma_f64 v[6:7], v[102:103], s[26:27], v[251:252]
	v_fma_f64 v[10:11], v[118:119], s[30:31], v[209:210]
	v_add_f64_e32 v[134:135], v[2:3], v[4:5]
	v_fma_f64 v[2:3], v[159:160], s[18:19], v[163:164]
	v_add_f64_e32 v[0:1], v[0:1], v[183:184]
	v_fma_f64 v[4:5], v[153:154], s[10:11], -v[181:182]
	s_delay_alu instid0(VALU_DEP_3) | instskip(NEXT) | instid1(VALU_DEP_2)
	v_add_f64_e32 v[2:3], v[2:3], v[173:174]
	v_add_f64_e32 v[0:1], v[4:5], v[0:1]
	v_fma_f64 v[4:5], v[155:156], s[30:31], v[239:240]
	s_delay_alu instid0(VALU_DEP_1) | instskip(SKIP_1) | instid1(VALU_DEP_1)
	v_add_f64_e32 v[2:3], v[4:5], v[2:3]
	v_fma_f64 v[4:5], v[116:117], s[16:17], -v[241:242]
	v_add_f64_e32 v[0:1], v[4:5], v[0:1]
	v_fma_f64 v[4:5], v[118:119], s[38:39], v[243:244]
	s_delay_alu instid0(VALU_DEP_1) | instskip(SKIP_1) | instid1(VALU_DEP_1)
	v_add_f64_e32 v[2:3], v[4:5], v[2:3]
	v_fma_f64 v[4:5], v[104:105], s[14:15], -v[245:246]
	v_add_f64_e32 v[0:1], v[4:5], v[0:1]
	v_fma_f64 v[4:5], v[106:107], s[24:25], v[247:248]
	s_delay_alu instid0(VALU_DEP_1) | instskip(SKIP_1) | instid1(VALU_DEP_2)
	v_add_f64_e32 v[2:3], v[4:5], v[2:3]
	v_fma_f64 v[4:5], v[100:101], s[8:9], -v[249:250]
	v_add_f64_e32 v[147:148], v[6:7], v[2:3]
	s_delay_alu instid0(VALU_DEP_2) | instskip(SKIP_4) | instid1(VALU_DEP_4)
	v_add_f64_e32 v[145:146], v[4:5], v[0:1]
	v_fma_f64 v[0:1], v[157:158], s[10:11], -v[219:220]
	v_fma_f64 v[2:3], v[159:160], s[20:21], v[221:222]
	v_fma_f64 v[4:5], v[153:154], s[2:3], -v[151:152]
	v_fma_f64 v[6:7], v[102:103], s[38:39], v[235:236]
	v_add_f64_e32 v[0:1], v[0:1], v[161:162]
	s_delay_alu instid0(VALU_DEP_4) | instskip(NEXT) | instid1(VALU_DEP_2)
	v_add_f64_e32 v[2:3], v[2:3], v[171:172]
	v_add_f64_e32 v[0:1], v[4:5], v[0:1]
	v_fma_f64 v[4:5], v[155:156], s[18:19], v[223:224]
	s_delay_alu instid0(VALU_DEP_1) | instskip(SKIP_1) | instid1(VALU_DEP_1)
	v_add_f64_e32 v[2:3], v[4:5], v[2:3]
	v_fma_f64 v[4:5], v[116:117], s[8:9], -v[225:226]
	v_add_f64_e32 v[0:1], v[4:5], v[0:1]
	v_fma_f64 v[4:5], v[118:119], s[28:29], v[227:228]
	s_delay_alu instid0(VALU_DEP_1) | instskip(SKIP_1) | instid1(VALU_DEP_1)
	v_add_f64_e32 v[2:3], v[4:5], v[2:3]
	v_fma_f64 v[4:5], v[104:105], s[12:13], -v[229:230]
	v_add_f64_e32 v[0:1], v[4:5], v[0:1]
	v_fma_f64 v[4:5], v[106:107], s[34:35], v[231:232]
	s_delay_alu instid0(VALU_DEP_1) | instskip(SKIP_1) | instid1(VALU_DEP_2)
	v_add_f64_e32 v[2:3], v[4:5], v[2:3]
	v_fma_f64 v[4:5], v[100:101], s[16:17], -v[233:234]
	v_add_f64_e32 v[151:152], v[6:7], v[2:3]
	s_delay_alu instid0(VALU_DEP_2) | instskip(SKIP_4) | instid1(VALU_DEP_4)
	v_add_f64_e32 v[149:150], v[4:5], v[0:1]
	v_fma_f64 v[0:1], v[157:158], s[14:15], v[199:200]
	v_fma_f64 v[2:3], v[159:160], s[36:37], v[201:202]
	;; [unrolled: 1-line block ×4, first 2 shown]
	v_add_f64_e32 v[0:1], v[0:1], v[191:192]
	s_delay_alu instid0(VALU_DEP_4) | instskip(NEXT) | instid1(VALU_DEP_2)
	v_add_f64_e32 v[2:3], v[2:3], v[179:180]
	v_add_f64_e32 v[0:1], v[4:5], v[0:1]
	s_delay_alu instid0(VALU_DEP_2) | instskip(SKIP_2) | instid1(VALU_DEP_4)
	v_add_f64_e32 v[2:3], v[6:7], v[2:3]
	v_fma_f64 v[4:5], v[104:105], s[8:9], v[211:212]
	v_fma_f64 v[6:7], v[106:107], s[28:29], v[213:214]
	v_add_f64_e32 v[0:1], v[8:9], v[0:1]
	s_delay_alu instid0(VALU_DEP_4) | instskip(SKIP_2) | instid1(VALU_DEP_4)
	v_add_f64_e32 v[2:3], v[10:11], v[2:3]
	v_fma_f64 v[8:9], v[100:101], s[2:3], v[215:216]
	v_fma_f64 v[10:11], v[102:103], s[22:23], v[217:218]
	v_add_f64_e32 v[0:1], v[4:5], v[0:1]
	s_delay_alu instid0(VALU_DEP_4) | instskip(NEXT) | instid1(VALU_DEP_2)
	v_add_f64_e32 v[2:3], v[6:7], v[2:3]
	v_add_f64_e32 v[100:101], v[8:9], v[0:1]
	s_delay_alu instid0(VALU_DEP_2)
	v_add_f64_e32 v[102:103], v[10:11], v[2:3]
	ds_store_b128 v144, v[92:95] offset:32
	ds_store_b128 v144, v[96:99] offset:48
	ds_store_b128 v144, v[120:123] offset:64
	ds_store_b128 v144, v[124:127] offset:80
	ds_store_b128 v144, v[108:111] offset:96
	ds_store_b128 v144, v[112:115] offset:112
	ds_store_b128 v144, v[128:131] offset:128
	ds_store_b128 v144, v[132:135] offset:144
	ds_store_b128 v144, v[145:148] offset:160
	ds_store_b128 v144, v[149:152] offset:176
	ds_store_b128 v144, v[84:87] offset:192
	ds_store_b128 v144, v[100:103] offset:16
	ds_store_b128 v144, v[88:91]
	global_wb scope:SCOPE_SE
	s_wait_dscnt 0x0
	s_barrier_signal -1
	s_barrier_wait -1
	global_inv scope:SCOPE_SE
	ds_load_b128 v[92:95], v255
	ds_load_b128 v[96:99], v140 offset:32
	ds_load_b128 v[112:115], v140 offset:208
	;; [unrolled: 1-line block ×11, first 2 shown]
	s_and_saveexec_b32 s2, vcc_lo
	s_cbranch_execz .LBB0_7
; %bb.6:
	ds_load_b128 v[84:87], v26 offset:192
	ds_load_b128 v[72:75], v141 offset:400
.LBB0_7:
	s_wait_alu 0xfffe
	s_or_b32 exec_lo, exec_lo, s2
	s_wait_dscnt 0x9
	v_mul_f64_e32 v[0:1], v[58:59], v[114:115]
	v_mul_f64_e32 v[2:3], v[58:59], v[112:113]
	s_wait_dscnt 0x8
	v_mul_f64_e32 v[4:5], v[62:63], v[118:119]
	v_mul_f64_e32 v[6:7], v[62:63], v[116:117]
	s_wait_dscnt 0x5
	v_mul_f64_e32 v[8:9], v[66:67], v[126:127]
	v_mul_f64_e32 v[10:11], v[66:67], v[124:125]
	s_wait_dscnt 0x4
	v_mul_f64_e32 v[12:13], v[70:71], v[122:123]
	v_mul_f64_e32 v[14:15], v[70:71], v[120:121]
	s_wait_dscnt 0x1
	v_mul_f64_e32 v[16:17], v[78:79], v[134:135]
	v_mul_f64_e32 v[18:19], v[78:79], v[132:133]
	s_wait_dscnt 0x0
	v_mul_f64_e32 v[20:21], v[82:83], v[130:131]
	v_mul_f64_e32 v[22:23], v[82:83], v[128:129]
	v_fma_f64 v[0:1], v[56:57], v[112:113], v[0:1]
	v_fma_f64 v[2:3], v[56:57], v[114:115], -v[2:3]
	v_fma_f64 v[4:5], v[60:61], v[116:117], v[4:5]
	v_fma_f64 v[6:7], v[60:61], v[118:119], -v[6:7]
	;; [unrolled: 2-line block ×6, first 2 shown]
	v_add_f64_e64 v[56:57], v[92:93], -v[0:1]
	v_add_f64_e64 v[58:59], v[94:95], -v[2:3]
	;; [unrolled: 1-line block ×12, first 2 shown]
	v_fma_f64 v[92:93], v[92:93], 2.0, -v[56:57]
	v_fma_f64 v[94:95], v[94:95], 2.0, -v[58:59]
	;; [unrolled: 1-line block ×12, first 2 shown]
	ds_store_b128 v255, v[92:95]
	ds_store_b128 v140, v[96:99] offset:32
	ds_store_b128 v140, v[100:103] offset:64
	ds_store_b128 v140, v[60:63] offset:240
	ds_store_b128 v140, v[64:67] offset:272
	ds_store_b128 v140, v[104:107] offset:96
	ds_store_b128 v140, v[108:111] offset:128
	ds_store_b128 v140, v[68:71] offset:304
	ds_store_b128 v140, v[76:79] offset:336
	ds_store_b128 v140, v[56:59] offset:208
	ds_store_b128 v140, v[88:91] offset:160
	ds_store_b128 v140, v[80:83] offset:368
	s_and_saveexec_b32 s2, vcc_lo
	s_cbranch_execz .LBB0_9
; %bb.8:
	v_mul_f64_e32 v[0:1], v[54:55], v[72:73]
	v_mul_f64_e32 v[2:3], v[54:55], v[74:75]
	s_delay_alu instid0(VALU_DEP_2) | instskip(NEXT) | instid1(VALU_DEP_2)
	v_fma_f64 v[0:1], v[52:53], v[74:75], -v[0:1]
	v_fma_f64 v[2:3], v[52:53], v[72:73], v[2:3]
	s_delay_alu instid0(VALU_DEP_2) | instskip(NEXT) | instid1(VALU_DEP_2)
	v_add_f64_e64 v[54:55], v[86:87], -v[0:1]
	v_add_f64_e64 v[52:53], v[84:85], -v[2:3]
	s_delay_alu instid0(VALU_DEP_2) | instskip(NEXT) | instid1(VALU_DEP_2)
	v_fma_f64 v[58:59], v[86:87], 2.0, -v[54:55]
	v_fma_f64 v[56:57], v[84:85], 2.0, -v[52:53]
	ds_store_b128 v26, v[56:59] offset:192
	ds_store_b128 v141, v[52:55] offset:400
.LBB0_9:
	s_wait_alu 0xfffe
	s_or_b32 exec_lo, exec_lo, s2
	global_wb scope:SCOPE_SE
	s_wait_dscnt 0x0
	s_barrier_signal -1
	s_barrier_wait -1
	global_inv scope:SCOPE_SE
	ds_load_b128 v[52:55], v255
	ds_load_b128 v[56:59], v140 offset:32
	ds_load_b128 v[60:63], v140 offset:64
	s_clause 0x1
	scratch_load_b64 v[0:1], off, off th:TH_LOAD_LU
	scratch_load_b32 v2, off, off offset:24 th:TH_LOAD_LU
	ds_load_b128 v[64:67], v140 offset:96
	ds_load_b128 v[68:71], v140 offset:128
	;; [unrolled: 1-line block ×4, first 2 shown]
	s_clause 0x1
	scratch_load_b128 v[122:125], off, off offset:8 th:TH_LOAD_LU
	scratch_load_b128 v[128:131], off, off offset:44 th:TH_LOAD_LU
	ds_load_b128 v[80:83], v140 offset:224
	ds_load_b128 v[84:87], v140 offset:256
	;; [unrolled: 1-line block ×4, first 2 shown]
	s_mov_b32 s2, 0x13b13b14
	s_mov_b32 s3, 0x3fa3b13b
	s_wait_dscnt 0x3
	v_mul_f64_e32 v[110:111], v[30:31], v[82:83]
	v_mul_f64_e32 v[30:31], v[30:31], v[80:81]
	s_wait_dscnt 0x2
	v_mul_f64_e32 v[112:113], v[34:35], v[86:87]
	v_mul_f64_e32 v[34:35], v[34:35], v[84:85]
	;; [unrolled: 3-line block ×4, first 2 shown]
	v_fma_f64 v[30:31], v[28:29], v[82:83], -v[30:31]
	v_fma_f64 v[34:35], v[32:33], v[86:87], -v[34:35]
	;; [unrolled: 1-line block ×3, first 2 shown]
	s_delay_alu instid0(VALU_DEP_4) | instskip(SKIP_1) | instid1(VALU_DEP_4)
	v_fma_f64 v[42:43], v[40:41], v[94:95], -v[42:43]
	s_wait_alu 0xfffe
	v_mul_f64_e32 v[30:31], s[2:3], v[30:31]
	s_delay_alu instid0(VALU_DEP_4) | instskip(NEXT) | instid1(VALU_DEP_4)
	v_mul_f64_e32 v[34:35], s[2:3], v[34:35]
	v_mul_f64_e32 v[38:39], s[2:3], v[38:39]
	s_delay_alu instid0(VALU_DEP_4)
	v_mul_f64_e32 v[42:43], s[2:3], v[42:43]
	s_wait_loadcnt 0x3
	v_mov_b32_e32 v24, v0
	s_wait_loadcnt 0x2
	v_mul_lo_u32 v3, s5, v2
	v_mul_lo_u32 v2, s4, v2
	s_lshl_b64 s[4:5], s[4:5], 5
	s_wait_loadcnt 0x1
	v_mul_f64_e32 v[4:5], v[124:125], v[54:55]
	v_mul_f64_e32 v[6:7], v[124:125], v[52:53]
	s_wait_loadcnt 0x0
	v_mul_f64_e32 v[8:9], v[130:131], v[58:59]
	v_mul_f64_e32 v[10:11], v[130:131], v[56:57]
	scratch_load_b128 v[124:127], off, off offset:28 th:TH_LOAD_LU ; 16-byte Folded Reload
	ds_load_b128 v[96:99], v140 offset:352
	ds_load_b128 v[100:103], v140 offset:384
	scratch_load_b128 v[130:133], off, off offset:60 th:TH_LOAD_LU ; 16-byte Folded Reload
	v_mad_co_u64_u32 v[0:1], null, s6, v24, 0
	v_lshlrev_b64_e32 v[2:3], 4, v[2:3]
	s_delay_alu instid0(VALU_DEP_1) | instskip(NEXT) | instid1(VALU_DEP_1)
	v_mad_co_u64_u32 v[24:25], null, s7, v24, v[1:2]
	v_mov_b32_e32 v1, v24
	s_wait_dscnt 0x1
	v_mul_f64_e32 v[118:119], v[46:47], v[98:99]
	v_mul_f64_e32 v[46:47], v[46:47], v[96:97]
	s_wait_dscnt 0x0
	v_mul_f64_e32 v[120:121], v[50:51], v[102:103]
	v_mul_f64_e32 v[50:51], v[50:51], v[100:101]
	v_lshlrev_b64_e32 v[0:1], 4, v[0:1]
	s_delay_alu instid0(VALU_DEP_1) | instskip(SKIP_1) | instid1(VALU_DEP_2)
	v_add_co_u32 v0, vcc_lo, s0, v0
	s_wait_alu 0xfffd
	v_add_co_ci_u32_e32 v1, vcc_lo, s1, v1, vcc_lo
	v_fma_f64 v[4:5], v[122:123], v[52:53], v[4:5]
	v_fma_f64 v[6:7], v[122:123], v[54:55], -v[6:7]
	v_fma_f64 v[8:9], v[128:129], v[56:57], v[8:9]
	v_fma_f64 v[10:11], v[128:129], v[58:59], -v[10:11]
	v_add_co_u32 v52, vcc_lo, v0, v2
	s_wait_alu 0xfffd
	v_add_co_ci_u32_e32 v53, vcc_lo, v1, v3, vcc_lo
	s_wait_alu 0xfffe
	s_delay_alu instid0(VALU_DEP_2) | instskip(SKIP_1) | instid1(VALU_DEP_2)
	v_add_co_u32 v54, vcc_lo, v52, s4
	s_wait_alu 0xfffd
	v_add_co_ci_u32_e32 v55, vcc_lo, s5, v53, vcc_lo
	v_fma_f64 v[46:47], v[44:45], v[98:99], -v[46:47]
	v_mul_f64_e32 v[0:1], s[2:3], v[4:5]
	v_mul_f64_e32 v[2:3], s[2:3], v[6:7]
	;; [unrolled: 1-line block ×5, first 2 shown]
	s_wait_loadcnt 0x1
	v_mul_f64_e32 v[12:13], v[126:127], v[62:63]
	v_mul_f64_e32 v[14:15], v[126:127], v[60:61]
	s_wait_loadcnt 0x0
	v_mul_f64_e32 v[16:17], v[132:133], v[66:67]
	v_mul_f64_e32 v[18:19], v[132:133], v[64:65]
	scratch_load_b128 v[132:135], off, off offset:76 th:TH_LOAD_LU ; 16-byte Folded Reload
	v_fma_f64 v[12:13], v[124:125], v[60:61], v[12:13]
	v_fma_f64 v[14:15], v[124:125], v[62:63], -v[14:15]
	v_fma_f64 v[16:17], v[130:131], v[64:65], v[16:17]
	v_fma_f64 v[18:19], v[130:131], v[66:67], -v[18:19]
	v_fma_f64 v[60:61], v[28:29], v[80:81], v[110:111]
	v_fma_f64 v[62:63], v[32:33], v[84:85], v[112:113]
	;; [unrolled: 1-line block ×4, first 2 shown]
	v_mul_f64_e32 v[8:9], s[2:3], v[12:13]
	v_mul_f64_e32 v[10:11], s[2:3], v[14:15]
	;; [unrolled: 1-line block ×8, first 2 shown]
	s_wait_loadcnt 0x0
	v_mul_f64_e32 v[20:21], v[134:135], v[70:71]
	v_mul_f64_e32 v[22:23], v[134:135], v[68:69]
	scratch_load_b128 v[134:137], off, off offset:92 th:TH_LOAD_LU ; 16-byte Folded Reload
	v_fma_f64 v[20:21], v[132:133], v[68:69], v[20:21]
	v_fma_f64 v[22:23], v[132:133], v[70:71], -v[22:23]
	v_fma_f64 v[68:69], v[44:45], v[96:97], v[118:119]
	v_fma_f64 v[70:71], v[48:49], v[100:101], v[120:121]
	v_fma_f64 v[48:49], v[48:49], v[102:103], -v[50:51]
	v_add_co_u32 v50, vcc_lo, v54, s4
	s_wait_alu 0xfffd
	v_add_co_ci_u32_e32 v51, vcc_lo, s5, v55, vcc_lo
	v_mul_f64_e32 v[16:17], s[2:3], v[20:21]
	v_mul_f64_e32 v[18:19], s[2:3], v[22:23]
	;; [unrolled: 1-line block ×3, first 2 shown]
	s_wait_loadcnt 0x0
	v_mul_f64_e32 v[25:26], v[136:137], v[74:75]
	v_mul_f64_e32 v[104:105], v[136:137], v[72:73]
	scratch_load_b128 v[136:139], off, off offset:108 th:TH_LOAD_LU ; 16-byte Folded Reload
	s_clause 0x1
	global_store_b128 v[52:53], v[0:3], off
	global_store_b128 v[54:55], v[4:7], off
	v_mul_f64_e32 v[0:1], s[2:3], v[70:71]
	v_mul_f64_e32 v[2:3], s[2:3], v[48:49]
	global_store_b128 v[50:51], v[8:11], off
	v_fma_f64 v[24:25], v[134:135], v[72:73], v[25:26]
	v_fma_f64 v[26:27], v[134:135], v[74:75], -v[104:105]
	v_add_co_u32 v72, vcc_lo, v50, s4
	s_wait_alu 0xfffd
	v_add_co_ci_u32_e32 v73, vcc_lo, s5, v51, vcc_lo
	s_delay_alu instid0(VALU_DEP_2) | instskip(SKIP_1) | instid1(VALU_DEP_2)
	v_add_co_u32 v74, vcc_lo, v72, s4
	s_wait_alu 0xfffd
	v_add_co_ci_u32_e32 v75, vcc_lo, s5, v73, vcc_lo
	s_clause 0x1
	global_store_b128 v[72:73], v[12:15], off
	global_store_b128 v[74:75], v[16:19], off
	v_mul_f64_e32 v[20:21], s[2:3], v[24:25]
	v_mul_f64_e32 v[22:23], s[2:3], v[26:27]
	s_wait_loadcnt 0x0
	v_mul_f64_e32 v[106:107], v[138:139], v[78:79]
	v_mul_f64_e32 v[108:109], v[138:139], v[76:77]
	s_delay_alu instid0(VALU_DEP_2) | instskip(NEXT) | instid1(VALU_DEP_2)
	v_fma_f64 v[56:57], v[136:137], v[76:77], v[106:107]
	v_fma_f64 v[58:59], v[136:137], v[78:79], -v[108:109]
	v_add_co_u32 v76, vcc_lo, v74, s4
	s_wait_alu 0xfffd
	v_add_co_ci_u32_e32 v77, vcc_lo, s5, v75, vcc_lo
	s_delay_alu instid0(VALU_DEP_2) | instskip(SKIP_1) | instid1(VALU_DEP_2)
	v_add_co_u32 v4, vcc_lo, v76, s4
	s_wait_alu 0xfffd
	v_add_co_ci_u32_e32 v5, vcc_lo, s5, v77, vcc_lo
	global_store_b128 v[76:77], v[20:23], off
	v_add_co_u32 v6, vcc_lo, v4, s4
	s_wait_alu 0xfffd
	v_add_co_ci_u32_e32 v7, vcc_lo, s5, v5, vcc_lo
	s_delay_alu instid0(VALU_DEP_2) | instskip(SKIP_1) | instid1(VALU_DEP_2)
	v_add_co_u32 v8, vcc_lo, v6, s4
	s_wait_alu 0xfffd
	v_add_co_ci_u32_e32 v9, vcc_lo, s5, v7, vcc_lo
	s_delay_alu instid0(VALU_DEP_2) | instskip(SKIP_1) | instid1(VALU_DEP_2)
	;; [unrolled: 4-line block ×3, first 2 shown]
	v_add_co_u32 v12, vcc_lo, v10, s4
	s_wait_alu 0xfffd
	v_add_co_ci_u32_e32 v13, vcc_lo, s5, v11, vcc_lo
	v_mul_f64_e32 v[24:25], s[2:3], v[56:57]
	v_mul_f64_e32 v[26:27], s[2:3], v[58:59]
	global_store_b128 v[4:5], v[24:27], off
	v_add_co_u32 v4, vcc_lo, v12, s4
	s_wait_alu 0xfffd
	v_add_co_ci_u32_e32 v5, vcc_lo, s5, v13, vcc_lo
	global_store_b128 v[6:7], v[28:31], off
	v_add_co_u32 v6, vcc_lo, v4, s4
	s_wait_alu 0xfffd
	v_add_co_ci_u32_e32 v7, vcc_lo, s5, v5, vcc_lo
	global_store_b128 v[8:9], v[32:35], off
	global_store_b128 v[10:11], v[36:39], off
	;; [unrolled: 1-line block ×5, first 2 shown]
.LBB0_10:
	s_nop 0
	s_sendmsg sendmsg(MSG_DEALLOC_VGPRS)
	s_endpgm
	.section	.rodata,"a",@progbits
	.p2align	6, 0x0
	.amdhsa_kernel bluestein_single_fwd_len26_dim1_dp_op_CI_CI
		.amdhsa_group_segment_fixed_size 13312
		.amdhsa_private_segment_fixed_size 132
		.amdhsa_kernarg_size 104
		.amdhsa_user_sgpr_count 2
		.amdhsa_user_sgpr_dispatch_ptr 0
		.amdhsa_user_sgpr_queue_ptr 0
		.amdhsa_user_sgpr_kernarg_segment_ptr 1
		.amdhsa_user_sgpr_dispatch_id 0
		.amdhsa_user_sgpr_private_segment_size 0
		.amdhsa_wavefront_size32 1
		.amdhsa_uses_dynamic_stack 0
		.amdhsa_enable_private_segment 1
		.amdhsa_system_sgpr_workgroup_id_x 1
		.amdhsa_system_sgpr_workgroup_id_y 0
		.amdhsa_system_sgpr_workgroup_id_z 0
		.amdhsa_system_sgpr_workgroup_info 0
		.amdhsa_system_vgpr_workitem_id 0
		.amdhsa_next_free_vgpr 256
		.amdhsa_next_free_sgpr 44
		.amdhsa_reserve_vcc 1
		.amdhsa_float_round_mode_32 0
		.amdhsa_float_round_mode_16_64 0
		.amdhsa_float_denorm_mode_32 3
		.amdhsa_float_denorm_mode_16_64 3
		.amdhsa_fp16_overflow 0
		.amdhsa_workgroup_processor_mode 1
		.amdhsa_memory_ordered 1
		.amdhsa_forward_progress 0
		.amdhsa_round_robin_scheduling 0
		.amdhsa_exception_fp_ieee_invalid_op 0
		.amdhsa_exception_fp_denorm_src 0
		.amdhsa_exception_fp_ieee_div_zero 0
		.amdhsa_exception_fp_ieee_overflow 0
		.amdhsa_exception_fp_ieee_underflow 0
		.amdhsa_exception_fp_ieee_inexact 0
		.amdhsa_exception_int_div_zero 0
	.end_amdhsa_kernel
	.text
.Lfunc_end0:
	.size	bluestein_single_fwd_len26_dim1_dp_op_CI_CI, .Lfunc_end0-bluestein_single_fwd_len26_dim1_dp_op_CI_CI
                                        ; -- End function
	.section	.AMDGPU.csdata,"",@progbits
; Kernel info:
; codeLenInByte = 11288
; NumSgprs: 46
; NumVgprs: 256
; ScratchSize: 132
; MemoryBound: 0
; FloatMode: 240
; IeeeMode: 1
; LDSByteSize: 13312 bytes/workgroup (compile time only)
; SGPRBlocks: 5
; VGPRBlocks: 31
; NumSGPRsForWavesPerEU: 46
; NumVGPRsForWavesPerEU: 256
; Occupancy: 5
; WaveLimiterHint : 1
; COMPUTE_PGM_RSRC2:SCRATCH_EN: 1
; COMPUTE_PGM_RSRC2:USER_SGPR: 2
; COMPUTE_PGM_RSRC2:TRAP_HANDLER: 0
; COMPUTE_PGM_RSRC2:TGID_X_EN: 1
; COMPUTE_PGM_RSRC2:TGID_Y_EN: 0
; COMPUTE_PGM_RSRC2:TGID_Z_EN: 0
; COMPUTE_PGM_RSRC2:TIDIG_COMP_CNT: 0
	.text
	.p2alignl 7, 3214868480
	.fill 96, 4, 3214868480
	.type	__hip_cuid_3b121430c16d440b,@object ; @__hip_cuid_3b121430c16d440b
	.section	.bss,"aw",@nobits
	.globl	__hip_cuid_3b121430c16d440b
__hip_cuid_3b121430c16d440b:
	.byte	0                               ; 0x0
	.size	__hip_cuid_3b121430c16d440b, 1

	.ident	"AMD clang version 19.0.0git (https://github.com/RadeonOpenCompute/llvm-project roc-6.4.0 25133 c7fe45cf4b819c5991fe208aaa96edf142730f1d)"
	.section	".note.GNU-stack","",@progbits
	.addrsig
	.addrsig_sym __hip_cuid_3b121430c16d440b
	.amdgpu_metadata
---
amdhsa.kernels:
  - .args:
      - .actual_access:  read_only
        .address_space:  global
        .offset:         0
        .size:           8
        .value_kind:     global_buffer
      - .actual_access:  read_only
        .address_space:  global
        .offset:         8
        .size:           8
        .value_kind:     global_buffer
      - .actual_access:  read_only
        .address_space:  global
        .offset:         16
        .size:           8
        .value_kind:     global_buffer
      - .actual_access:  read_only
        .address_space:  global
        .offset:         24
        .size:           8
        .value_kind:     global_buffer
      - .actual_access:  read_only
        .address_space:  global
        .offset:         32
        .size:           8
        .value_kind:     global_buffer
      - .offset:         40
        .size:           8
        .value_kind:     by_value
      - .address_space:  global
        .offset:         48
        .size:           8
        .value_kind:     global_buffer
      - .address_space:  global
        .offset:         56
        .size:           8
        .value_kind:     global_buffer
      - .address_space:  global
        .offset:         64
        .size:           8
        .value_kind:     global_buffer
      - .address_space:  global
        .offset:         72
        .size:           8
        .value_kind:     global_buffer
      - .offset:         80
        .size:           4
        .value_kind:     by_value
      - .address_space:  global
        .offset:         88
        .size:           8
        .value_kind:     global_buffer
      - .address_space:  global
        .offset:         96
        .size:           8
        .value_kind:     global_buffer
    .group_segment_fixed_size: 13312
    .kernarg_segment_align: 8
    .kernarg_segment_size: 104
    .language:       OpenCL C
    .language_version:
      - 2
      - 0
    .max_flat_workgroup_size: 64
    .name:           bluestein_single_fwd_len26_dim1_dp_op_CI_CI
    .private_segment_fixed_size: 132
    .sgpr_count:     46
    .sgpr_spill_count: 0
    .symbol:         bluestein_single_fwd_len26_dim1_dp_op_CI_CI.kd
    .uniform_work_group_size: 1
    .uses_dynamic_stack: false
    .vgpr_count:     256
    .vgpr_spill_count: 32
    .wavefront_size: 32
    .workgroup_processor_mode: 1
amdhsa.target:   amdgcn-amd-amdhsa--gfx1201
amdhsa.version:
  - 1
  - 2
...

	.end_amdgpu_metadata
